;; amdgpu-corpus repo=ParRes/Kernels kind=compiled arch=gfx1201 opt=O3
	.text
	.amdgcn_target "amdgcn-amd-amdhsa--gfx1201"
	.amdhsa_code_object_version 6
	.section	.text._ZN6thrust11hip_rocprim14__parallel_for6kernelILj256ENS0_20__uninitialized_fill7functorINS_10device_ptrIdEEdEEmLj1EEEvT0_T1_S9_,"axG",@progbits,_ZN6thrust11hip_rocprim14__parallel_for6kernelILj256ENS0_20__uninitialized_fill7functorINS_10device_ptrIdEEdEEmLj1EEEvT0_T1_S9_,comdat
	.protected	_ZN6thrust11hip_rocprim14__parallel_for6kernelILj256ENS0_20__uninitialized_fill7functorINS_10device_ptrIdEEdEEmLj1EEEvT0_T1_S9_ ; -- Begin function _ZN6thrust11hip_rocprim14__parallel_for6kernelILj256ENS0_20__uninitialized_fill7functorINS_10device_ptrIdEEdEEmLj1EEEvT0_T1_S9_
	.globl	_ZN6thrust11hip_rocprim14__parallel_for6kernelILj256ENS0_20__uninitialized_fill7functorINS_10device_ptrIdEEdEEmLj1EEEvT0_T1_S9_
	.p2align	8
	.type	_ZN6thrust11hip_rocprim14__parallel_for6kernelILj256ENS0_20__uninitialized_fill7functorINS_10device_ptrIdEEdEEmLj1EEEvT0_T1_S9_,@function
_ZN6thrust11hip_rocprim14__parallel_for6kernelILj256ENS0_20__uninitialized_fill7functorINS_10device_ptrIdEEdEEmLj1EEEvT0_T1_S9_: ; @_ZN6thrust11hip_rocprim14__parallel_for6kernelILj256ENS0_20__uninitialized_fill7functorINS_10device_ptrIdEEdEEmLj1EEEvT0_T1_S9_
; %bb.0:
	s_load_b256 s[0:7], s[0:1], 0x0
	s_lshl_b32 s8, ttmp9, 8
	s_mov_b32 s9, 0
	s_wait_kmcnt 0x0
	s_add_nc_u64 s[6:7], s[8:9], s[6:7]
	s_delay_alu instid0(SALU_CYCLE_1) | instskip(NEXT) | instid1(SALU_CYCLE_1)
	s_sub_nc_u64 s[4:5], s[4:5], s[6:7]
	v_cmp_gt_u64_e64 s5, 0x100, s[4:5]
	s_delay_alu instid0(VALU_DEP_1)
	s_and_b32 vcc_lo, exec_lo, s5
	s_cbranch_vccz .LBB0_2
; %bb.1:
	v_cmp_gt_u32_e32 vcc_lo, s4, v0
	s_and_b32 s9, vcc_lo, exec_lo
	s_cbranch_execz .LBB0_3
	s_branch .LBB0_4
.LBB0_2:
.LBB0_3:
	s_or_b32 s9, s9, exec_lo
.LBB0_4:
	s_delay_alu instid0(SALU_CYCLE_1)
	s_and_saveexec_b32 s4, s9
	s_cbranch_execnz .LBB0_6
; %bb.5:
	s_endpgm
.LBB0_6:
	v_dual_mov_b32 v1, 0 :: v_dual_mov_b32 v2, s2
	s_lshl_b64 s[4:5], s[6:7], 3
	v_mov_b32_e32 v3, s3
	s_wait_alu 0xfffe
	s_add_nc_u64 s[0:1], s[0:1], s[4:5]
	v_lshlrev_b64_e32 v[0:1], 3, v[0:1]
	s_delay_alu instid0(VALU_DEP_1) | instskip(NEXT) | instid1(VALU_DEP_2)
	v_add_co_u32 v0, vcc_lo, s0, v0
	v_add_co_ci_u32_e32 v1, vcc_lo, s1, v1, vcc_lo
	flat_store_b64 v[0:1], v[2:3]
	s_endpgm
	.section	.rodata,"a",@progbits
	.p2align	6, 0x0
	.amdhsa_kernel _ZN6thrust11hip_rocprim14__parallel_for6kernelILj256ENS0_20__uninitialized_fill7functorINS_10device_ptrIdEEdEEmLj1EEEvT0_T1_S9_
		.amdhsa_group_segment_fixed_size 0
		.amdhsa_private_segment_fixed_size 0
		.amdhsa_kernarg_size 32
		.amdhsa_user_sgpr_count 2
		.amdhsa_user_sgpr_dispatch_ptr 0
		.amdhsa_user_sgpr_queue_ptr 0
		.amdhsa_user_sgpr_kernarg_segment_ptr 1
		.amdhsa_user_sgpr_dispatch_id 0
		.amdhsa_user_sgpr_private_segment_size 0
		.amdhsa_wavefront_size32 1
		.amdhsa_uses_dynamic_stack 0
		.amdhsa_enable_private_segment 0
		.amdhsa_system_sgpr_workgroup_id_x 1
		.amdhsa_system_sgpr_workgroup_id_y 0
		.amdhsa_system_sgpr_workgroup_id_z 0
		.amdhsa_system_sgpr_workgroup_info 0
		.amdhsa_system_vgpr_workitem_id 0
		.amdhsa_next_free_vgpr 4
		.amdhsa_next_free_sgpr 10
		.amdhsa_reserve_vcc 1
		.amdhsa_float_round_mode_32 0
		.amdhsa_float_round_mode_16_64 0
		.amdhsa_float_denorm_mode_32 3
		.amdhsa_float_denorm_mode_16_64 3
		.amdhsa_fp16_overflow 0
		.amdhsa_workgroup_processor_mode 1
		.amdhsa_memory_ordered 1
		.amdhsa_forward_progress 0
		.amdhsa_round_robin_scheduling 0
		.amdhsa_exception_fp_ieee_invalid_op 0
		.amdhsa_exception_fp_denorm_src 0
		.amdhsa_exception_fp_ieee_div_zero 0
		.amdhsa_exception_fp_ieee_overflow 0
		.amdhsa_exception_fp_ieee_underflow 0
		.amdhsa_exception_fp_ieee_inexact 0
		.amdhsa_exception_int_div_zero 0
	.end_amdhsa_kernel
	.section	.text._ZN6thrust11hip_rocprim14__parallel_for6kernelILj256ENS0_20__uninitialized_fill7functorINS_10device_ptrIdEEdEEmLj1EEEvT0_T1_S9_,"axG",@progbits,_ZN6thrust11hip_rocprim14__parallel_for6kernelILj256ENS0_20__uninitialized_fill7functorINS_10device_ptrIdEEdEEmLj1EEEvT0_T1_S9_,comdat
.Lfunc_end0:
	.size	_ZN6thrust11hip_rocprim14__parallel_for6kernelILj256ENS0_20__uninitialized_fill7functorINS_10device_ptrIdEEdEEmLj1EEEvT0_T1_S9_, .Lfunc_end0-_ZN6thrust11hip_rocprim14__parallel_for6kernelILj256ENS0_20__uninitialized_fill7functorINS_10device_ptrIdEEdEEmLj1EEEvT0_T1_S9_
                                        ; -- End function
	.section	.AMDGPU.csdata,"",@progbits
; Kernel info:
; codeLenInByte = 152
; NumSgprs: 12
; NumVgprs: 4
; ScratchSize: 0
; MemoryBound: 0
; FloatMode: 240
; IeeeMode: 1
; LDSByteSize: 0 bytes/workgroup (compile time only)
; SGPRBlocks: 1
; VGPRBlocks: 0
; NumSGPRsForWavesPerEU: 12
; NumVGPRsForWavesPerEU: 4
; Occupancy: 16
; WaveLimiterHint : 0
; COMPUTE_PGM_RSRC2:SCRATCH_EN: 0
; COMPUTE_PGM_RSRC2:USER_SGPR: 2
; COMPUTE_PGM_RSRC2:TRAP_HANDLER: 0
; COMPUTE_PGM_RSRC2:TGID_X_EN: 1
; COMPUTE_PGM_RSRC2:TGID_Y_EN: 0
; COMPUTE_PGM_RSRC2:TGID_Z_EN: 0
; COMPUTE_PGM_RSRC2:TIDIG_COMP_CNT: 0
	.section	.text._ZN6thrust11hip_rocprim14__parallel_for6kernelILj256ENS0_11__transform17unary_transform_fINS_17counting_iteratorIlNS_11use_defaultES6_S6_EENS_6detail15normal_iteratorINS_10device_ptrIdEEEENS3_14no_stencil_tagEZNS0_6fill_nINS0_5par_tESC_ldEET0_RNS0_16execution_policyIT_EESG_T1_RKT2_EUllE_NS3_21always_true_predicateEEElLj1EEEvSG_SL_SL_,"axG",@progbits,_ZN6thrust11hip_rocprim14__parallel_for6kernelILj256ENS0_11__transform17unary_transform_fINS_17counting_iteratorIlNS_11use_defaultES6_S6_EENS_6detail15normal_iteratorINS_10device_ptrIdEEEENS3_14no_stencil_tagEZNS0_6fill_nINS0_5par_tESC_ldEET0_RNS0_16execution_policyIT_EESG_T1_RKT2_EUllE_NS3_21always_true_predicateEEElLj1EEEvSG_SL_SL_,comdat
	.protected	_ZN6thrust11hip_rocprim14__parallel_for6kernelILj256ENS0_11__transform17unary_transform_fINS_17counting_iteratorIlNS_11use_defaultES6_S6_EENS_6detail15normal_iteratorINS_10device_ptrIdEEEENS3_14no_stencil_tagEZNS0_6fill_nINS0_5par_tESC_ldEET0_RNS0_16execution_policyIT_EESG_T1_RKT2_EUllE_NS3_21always_true_predicateEEElLj1EEEvSG_SL_SL_ ; -- Begin function _ZN6thrust11hip_rocprim14__parallel_for6kernelILj256ENS0_11__transform17unary_transform_fINS_17counting_iteratorIlNS_11use_defaultES6_S6_EENS_6detail15normal_iteratorINS_10device_ptrIdEEEENS3_14no_stencil_tagEZNS0_6fill_nINS0_5par_tESC_ldEET0_RNS0_16execution_policyIT_EESG_T1_RKT2_EUllE_NS3_21always_true_predicateEEElLj1EEEvSG_SL_SL_
	.globl	_ZN6thrust11hip_rocprim14__parallel_for6kernelILj256ENS0_11__transform17unary_transform_fINS_17counting_iteratorIlNS_11use_defaultES6_S6_EENS_6detail15normal_iteratorINS_10device_ptrIdEEEENS3_14no_stencil_tagEZNS0_6fill_nINS0_5par_tESC_ldEET0_RNS0_16execution_policyIT_EESG_T1_RKT2_EUllE_NS3_21always_true_predicateEEElLj1EEEvSG_SL_SL_
	.p2align	8
	.type	_ZN6thrust11hip_rocprim14__parallel_for6kernelILj256ENS0_11__transform17unary_transform_fINS_17counting_iteratorIlNS_11use_defaultES6_S6_EENS_6detail15normal_iteratorINS_10device_ptrIdEEEENS3_14no_stencil_tagEZNS0_6fill_nINS0_5par_tESC_ldEET0_RNS0_16execution_policyIT_EESG_T1_RKT2_EUllE_NS3_21always_true_predicateEEElLj1EEEvSG_SL_SL_,@function
_ZN6thrust11hip_rocprim14__parallel_for6kernelILj256ENS0_11__transform17unary_transform_fINS_17counting_iteratorIlNS_11use_defaultES6_S6_EENS_6detail15normal_iteratorINS_10device_ptrIdEEEENS3_14no_stencil_tagEZNS0_6fill_nINS0_5par_tESC_ldEET0_RNS0_16execution_policyIT_EESG_T1_RKT2_EUllE_NS3_21always_true_predicateEEElLj1EEEvSG_SL_SL_: ; @_ZN6thrust11hip_rocprim14__parallel_for6kernelILj256ENS0_11__transform17unary_transform_fINS_17counting_iteratorIlNS_11use_defaultES6_S6_EENS_6detail15normal_iteratorINS_10device_ptrIdEEEENS3_14no_stencil_tagEZNS0_6fill_nINS0_5par_tESC_ldEET0_RNS0_16execution_policyIT_EESG_T1_RKT2_EUllE_NS3_21always_true_predicateEEElLj1EEEvSG_SL_SL_
; %bb.0:
	s_load_b128 s[4:7], s[0:1], 0x20
	s_lshl_b32 s2, ttmp9, 8
	s_mov_b32 s3, 0
	s_wait_kmcnt 0x0
	s_add_nc_u64 s[2:3], s[2:3], s[6:7]
	s_delay_alu instid0(SALU_CYCLE_1) | instskip(NEXT) | instid1(SALU_CYCLE_1)
	s_sub_nc_u64 s[4:5], s[4:5], s[2:3]
	v_cmp_gt_i64_e64 s5, 0x100, s[4:5]
	s_delay_alu instid0(VALU_DEP_1)
	s_and_b32 s5, s5, exec_lo
	s_cselect_b32 s4, s4, 0x100
	s_wait_alu 0xfffe
	v_cmp_gt_u32_e32 vcc_lo, s4, v0
	s_cmp_eq_u32 s4, 0x100
	s_cselect_b32 s4, -1, 0
	s_wait_alu 0xfffe
	s_or_b32 s4, s4, vcc_lo
	s_wait_alu 0xfffe
	s_and_saveexec_b32 s5, s4
	s_cbranch_execz .LBB1_2
; %bb.1:
	s_load_b128 s[4:7], s[0:1], 0x8
	v_lshlrev_b32_e32 v2, 3, v0
	s_lshl_b64 s[0:1], s[2:3], 3
	s_wait_kmcnt 0x0
	v_mov_b32_e32 v1, s7
	s_add_nc_u64 s[0:1], s[4:5], s[0:1]
	v_mov_b32_e32 v0, s6
	v_add_co_u32 v2, s0, s0, v2
	s_wait_alu 0xf1ff
	v_add_co_ci_u32_e64 v3, null, s1, 0, s0
	flat_store_b64 v[2:3], v[0:1]
.LBB1_2:
	s_endpgm
	.section	.rodata,"a",@progbits
	.p2align	6, 0x0
	.amdhsa_kernel _ZN6thrust11hip_rocprim14__parallel_for6kernelILj256ENS0_11__transform17unary_transform_fINS_17counting_iteratorIlNS_11use_defaultES6_S6_EENS_6detail15normal_iteratorINS_10device_ptrIdEEEENS3_14no_stencil_tagEZNS0_6fill_nINS0_5par_tESC_ldEET0_RNS0_16execution_policyIT_EESG_T1_RKT2_EUllE_NS3_21always_true_predicateEEElLj1EEEvSG_SL_SL_
		.amdhsa_group_segment_fixed_size 0
		.amdhsa_private_segment_fixed_size 0
		.amdhsa_kernarg_size 48
		.amdhsa_user_sgpr_count 2
		.amdhsa_user_sgpr_dispatch_ptr 0
		.amdhsa_user_sgpr_queue_ptr 0
		.amdhsa_user_sgpr_kernarg_segment_ptr 1
		.amdhsa_user_sgpr_dispatch_id 0
		.amdhsa_user_sgpr_private_segment_size 0
		.amdhsa_wavefront_size32 1
		.amdhsa_uses_dynamic_stack 0
		.amdhsa_enable_private_segment 0
		.amdhsa_system_sgpr_workgroup_id_x 1
		.amdhsa_system_sgpr_workgroup_id_y 0
		.amdhsa_system_sgpr_workgroup_id_z 0
		.amdhsa_system_sgpr_workgroup_info 0
		.amdhsa_system_vgpr_workitem_id 0
		.amdhsa_next_free_vgpr 4
		.amdhsa_next_free_sgpr 8
		.amdhsa_reserve_vcc 1
		.amdhsa_float_round_mode_32 0
		.amdhsa_float_round_mode_16_64 0
		.amdhsa_float_denorm_mode_32 3
		.amdhsa_float_denorm_mode_16_64 3
		.amdhsa_fp16_overflow 0
		.amdhsa_workgroup_processor_mode 1
		.amdhsa_memory_ordered 1
		.amdhsa_forward_progress 0
		.amdhsa_round_robin_scheduling 0
		.amdhsa_exception_fp_ieee_invalid_op 0
		.amdhsa_exception_fp_denorm_src 0
		.amdhsa_exception_fp_ieee_div_zero 0
		.amdhsa_exception_fp_ieee_overflow 0
		.amdhsa_exception_fp_ieee_underflow 0
		.amdhsa_exception_fp_ieee_inexact 0
		.amdhsa_exception_int_div_zero 0
	.end_amdhsa_kernel
	.section	.text._ZN6thrust11hip_rocprim14__parallel_for6kernelILj256ENS0_11__transform17unary_transform_fINS_17counting_iteratorIlNS_11use_defaultES6_S6_EENS_6detail15normal_iteratorINS_10device_ptrIdEEEENS3_14no_stencil_tagEZNS0_6fill_nINS0_5par_tESC_ldEET0_RNS0_16execution_policyIT_EESG_T1_RKT2_EUllE_NS3_21always_true_predicateEEElLj1EEEvSG_SL_SL_,"axG",@progbits,_ZN6thrust11hip_rocprim14__parallel_for6kernelILj256ENS0_11__transform17unary_transform_fINS_17counting_iteratorIlNS_11use_defaultES6_S6_EENS_6detail15normal_iteratorINS_10device_ptrIdEEEENS3_14no_stencil_tagEZNS0_6fill_nINS0_5par_tESC_ldEET0_RNS0_16execution_policyIT_EESG_T1_RKT2_EUllE_NS3_21always_true_predicateEEElLj1EEEvSG_SL_SL_,comdat
.Lfunc_end1:
	.size	_ZN6thrust11hip_rocprim14__parallel_for6kernelILj256ENS0_11__transform17unary_transform_fINS_17counting_iteratorIlNS_11use_defaultES6_S6_EENS_6detail15normal_iteratorINS_10device_ptrIdEEEENS3_14no_stencil_tagEZNS0_6fill_nINS0_5par_tESC_ldEET0_RNS0_16execution_policyIT_EESG_T1_RKT2_EUllE_NS3_21always_true_predicateEEElLj1EEEvSG_SL_SL_, .Lfunc_end1-_ZN6thrust11hip_rocprim14__parallel_for6kernelILj256ENS0_11__transform17unary_transform_fINS_17counting_iteratorIlNS_11use_defaultES6_S6_EENS_6detail15normal_iteratorINS_10device_ptrIdEEEENS3_14no_stencil_tagEZNS0_6fill_nINS0_5par_tESC_ldEET0_RNS0_16execution_policyIT_EESG_T1_RKT2_EUllE_NS3_21always_true_predicateEEElLj1EEEvSG_SL_SL_
                                        ; -- End function
	.section	.AMDGPU.csdata,"",@progbits
; Kernel info:
; codeLenInByte = 168
; NumSgprs: 10
; NumVgprs: 4
; ScratchSize: 0
; MemoryBound: 0
; FloatMode: 240
; IeeeMode: 1
; LDSByteSize: 0 bytes/workgroup (compile time only)
; SGPRBlocks: 1
; VGPRBlocks: 0
; NumSGPRsForWavesPerEU: 10
; NumVGPRsForWavesPerEU: 4
; Occupancy: 16
; WaveLimiterHint : 0
; COMPUTE_PGM_RSRC2:SCRATCH_EN: 0
; COMPUTE_PGM_RSRC2:USER_SGPR: 2
; COMPUTE_PGM_RSRC2:TRAP_HANDLER: 0
; COMPUTE_PGM_RSRC2:TGID_X_EN: 1
; COMPUTE_PGM_RSRC2:TGID_Y_EN: 0
; COMPUTE_PGM_RSRC2:TGID_Z_EN: 0
; COMPUTE_PGM_RSRC2:TIDIG_COMP_CNT: 0
	.section	.text._ZN6thrust11hip_rocprim14__parallel_for6kernelILj256ENS0_10for_each_fINS_12zip_iteratorINS_5tupleINS_6detail15normal_iteratorINS_10device_ptrIdEEEESA_SA_NS_9null_typeESB_SB_SB_SB_SB_SB_EEEENS6_16wrapped_functionIZ4mainEUlNS5_IRdddSB_SB_SB_SB_SB_SB_SB_EEE_vEEEElLj1EEEvT0_T1_SL_,"axG",@progbits,_ZN6thrust11hip_rocprim14__parallel_for6kernelILj256ENS0_10for_each_fINS_12zip_iteratorINS_5tupleINS_6detail15normal_iteratorINS_10device_ptrIdEEEESA_SA_NS_9null_typeESB_SB_SB_SB_SB_SB_EEEENS6_16wrapped_functionIZ4mainEUlNS5_IRdddSB_SB_SB_SB_SB_SB_SB_EEE_vEEEElLj1EEEvT0_T1_SL_,comdat
	.globl	_ZN6thrust11hip_rocprim14__parallel_for6kernelILj256ENS0_10for_each_fINS_12zip_iteratorINS_5tupleINS_6detail15normal_iteratorINS_10device_ptrIdEEEESA_SA_NS_9null_typeESB_SB_SB_SB_SB_SB_EEEENS6_16wrapped_functionIZ4mainEUlNS5_IRdddSB_SB_SB_SB_SB_SB_SB_EEE_vEEEElLj1EEEvT0_T1_SL_ ; -- Begin function _ZN6thrust11hip_rocprim14__parallel_for6kernelILj256ENS0_10for_each_fINS_12zip_iteratorINS_5tupleINS_6detail15normal_iteratorINS_10device_ptrIdEEEESA_SA_NS_9null_typeESB_SB_SB_SB_SB_SB_EEEENS6_16wrapped_functionIZ4mainEUlNS5_IRdddSB_SB_SB_SB_SB_SB_SB_EEE_vEEEElLj1EEEvT0_T1_SL_
	.p2align	8
	.type	_ZN6thrust11hip_rocprim14__parallel_for6kernelILj256ENS0_10for_each_fINS_12zip_iteratorINS_5tupleINS_6detail15normal_iteratorINS_10device_ptrIdEEEESA_SA_NS_9null_typeESB_SB_SB_SB_SB_SB_EEEENS6_16wrapped_functionIZ4mainEUlNS5_IRdddSB_SB_SB_SB_SB_SB_SB_EEE_vEEEElLj1EEEvT0_T1_SL_,@function
_ZN6thrust11hip_rocprim14__parallel_for6kernelILj256ENS0_10for_each_fINS_12zip_iteratorINS_5tupleINS_6detail15normal_iteratorINS_10device_ptrIdEEEESA_SA_NS_9null_typeESB_SB_SB_SB_SB_SB_EEEENS6_16wrapped_functionIZ4mainEUlNS5_IRdddSB_SB_SB_SB_SB_SB_SB_EEE_vEEEElLj1EEEvT0_T1_SL_: ; @_ZN6thrust11hip_rocprim14__parallel_for6kernelILj256ENS0_10for_each_fINS_12zip_iteratorINS_5tupleINS_6detail15normal_iteratorINS_10device_ptrIdEEEESA_SA_NS_9null_typeESB_SB_SB_SB_SB_SB_EEEENS6_16wrapped_functionIZ4mainEUlNS5_IRdddSB_SB_SB_SB_SB_SB_SB_EEE_vEEEElLj1EEEvT0_T1_SL_
; %bb.0:
	s_load_b128 s[4:7], s[0:1], 0x20
	s_lshl_b32 s2, ttmp9, 8
	s_mov_b32 s3, 0
	s_wait_kmcnt 0x0
	s_add_nc_u64 s[2:3], s[2:3], s[6:7]
	s_delay_alu instid0(SALU_CYCLE_1) | instskip(NEXT) | instid1(SALU_CYCLE_1)
	s_sub_nc_u64 s[4:5], s[4:5], s[2:3]
	v_cmp_gt_i64_e64 s5, 0x100, s[4:5]
	s_delay_alu instid0(VALU_DEP_1)
	s_and_b32 s5, s5, exec_lo
	s_cselect_b32 s4, s4, 0x100
	s_wait_alu 0xfffe
	v_cmp_gt_u32_e32 vcc_lo, s4, v0
	s_cmp_eq_u32 s4, 0x100
	s_cselect_b32 s4, -1, 0
	s_wait_alu 0xfffe
	s_or_b32 s4, s4, vcc_lo
	s_wait_alu 0xfffe
	s_and_saveexec_b32 s5, s4
	s_cbranch_execz .LBB2_2
; %bb.1:
	s_load_b256 s[4:11], s[0:1], 0x0
	v_add_co_u32 v0, s0, s2, v0
	s_delay_alu instid0(VALU_DEP_1) | instskip(NEXT) | instid1(VALU_DEP_1)
	v_add_co_ci_u32_e64 v1, null, s3, 0, s0
	v_lshlrev_b64_e32 v[0:1], 3, v[0:1]
	s_wait_kmcnt 0x0
	s_delay_alu instid0(VALU_DEP_1) | instskip(NEXT) | instid1(VALU_DEP_2)
	v_add_co_u32 v2, vcc_lo, s6, v0
	v_add_co_ci_u32_e32 v3, vcc_lo, s7, v1, vcc_lo
	v_add_co_u32 v4, vcc_lo, s8, v0
	s_wait_alu 0xfffd
	v_add_co_ci_u32_e32 v5, vcc_lo, s9, v1, vcc_lo
	v_add_co_u32 v0, vcc_lo, s4, v0
	global_load_b64 v[2:3], v[2:3], off
	global_load_b64 v[4:5], v[4:5], off
	s_wait_alu 0xfffd
	v_add_co_ci_u32_e32 v1, vcc_lo, s5, v1, vcc_lo
	global_load_b64 v[6:7], v[0:1], off
	s_wait_loadcnt 0x1
	v_fma_f64 v[2:3], s[10:11], v[4:5], v[2:3]
	s_wait_loadcnt 0x0
	s_delay_alu instid0(VALU_DEP_1)
	v_add_f64_e32 v[2:3], v[6:7], v[2:3]
	global_store_b64 v[0:1], v[2:3], off
.LBB2_2:
	s_nop 0
	s_sendmsg sendmsg(MSG_DEALLOC_VGPRS)
	s_endpgm
	.section	.rodata,"a",@progbits
	.p2align	6, 0x0
	.amdhsa_kernel _ZN6thrust11hip_rocprim14__parallel_for6kernelILj256ENS0_10for_each_fINS_12zip_iteratorINS_5tupleINS_6detail15normal_iteratorINS_10device_ptrIdEEEESA_SA_NS_9null_typeESB_SB_SB_SB_SB_SB_EEEENS6_16wrapped_functionIZ4mainEUlNS5_IRdddSB_SB_SB_SB_SB_SB_SB_EEE_vEEEElLj1EEEvT0_T1_SL_
		.amdhsa_group_segment_fixed_size 0
		.amdhsa_private_segment_fixed_size 0
		.amdhsa_kernarg_size 48
		.amdhsa_user_sgpr_count 2
		.amdhsa_user_sgpr_dispatch_ptr 0
		.amdhsa_user_sgpr_queue_ptr 0
		.amdhsa_user_sgpr_kernarg_segment_ptr 1
		.amdhsa_user_sgpr_dispatch_id 0
		.amdhsa_user_sgpr_private_segment_size 0
		.amdhsa_wavefront_size32 1
		.amdhsa_uses_dynamic_stack 0
		.amdhsa_enable_private_segment 0
		.amdhsa_system_sgpr_workgroup_id_x 1
		.amdhsa_system_sgpr_workgroup_id_y 0
		.amdhsa_system_sgpr_workgroup_id_z 0
		.amdhsa_system_sgpr_workgroup_info 0
		.amdhsa_system_vgpr_workitem_id 0
		.amdhsa_next_free_vgpr 8
		.amdhsa_next_free_sgpr 12
		.amdhsa_reserve_vcc 1
		.amdhsa_float_round_mode_32 0
		.amdhsa_float_round_mode_16_64 0
		.amdhsa_float_denorm_mode_32 3
		.amdhsa_float_denorm_mode_16_64 3
		.amdhsa_fp16_overflow 0
		.amdhsa_workgroup_processor_mode 1
		.amdhsa_memory_ordered 1
		.amdhsa_forward_progress 0
		.amdhsa_round_robin_scheduling 0
		.amdhsa_exception_fp_ieee_invalid_op 0
		.amdhsa_exception_fp_denorm_src 0
		.amdhsa_exception_fp_ieee_div_zero 0
		.amdhsa_exception_fp_ieee_overflow 0
		.amdhsa_exception_fp_ieee_underflow 0
		.amdhsa_exception_fp_ieee_inexact 0
		.amdhsa_exception_int_div_zero 0
	.end_amdhsa_kernel
	.section	.text._ZN6thrust11hip_rocprim14__parallel_for6kernelILj256ENS0_10for_each_fINS_12zip_iteratorINS_5tupleINS_6detail15normal_iteratorINS_10device_ptrIdEEEESA_SA_NS_9null_typeESB_SB_SB_SB_SB_SB_EEEENS6_16wrapped_functionIZ4mainEUlNS5_IRdddSB_SB_SB_SB_SB_SB_SB_EEE_vEEEElLj1EEEvT0_T1_SL_,"axG",@progbits,_ZN6thrust11hip_rocprim14__parallel_for6kernelILj256ENS0_10for_each_fINS_12zip_iteratorINS_5tupleINS_6detail15normal_iteratorINS_10device_ptrIdEEEESA_SA_NS_9null_typeESB_SB_SB_SB_SB_SB_EEEENS6_16wrapped_functionIZ4mainEUlNS5_IRdddSB_SB_SB_SB_SB_SB_SB_EEE_vEEEElLj1EEEvT0_T1_SL_,comdat
.Lfunc_end2:
	.size	_ZN6thrust11hip_rocprim14__parallel_for6kernelILj256ENS0_10for_each_fINS_12zip_iteratorINS_5tupleINS_6detail15normal_iteratorINS_10device_ptrIdEEEESA_SA_NS_9null_typeESB_SB_SB_SB_SB_SB_EEEENS6_16wrapped_functionIZ4mainEUlNS5_IRdddSB_SB_SB_SB_SB_SB_SB_EEE_vEEEElLj1EEEvT0_T1_SL_, .Lfunc_end2-_ZN6thrust11hip_rocprim14__parallel_for6kernelILj256ENS0_10for_each_fINS_12zip_iteratorINS_5tupleINS_6detail15normal_iteratorINS_10device_ptrIdEEEESA_SA_NS_9null_typeESB_SB_SB_SB_SB_SB_EEEENS6_16wrapped_functionIZ4mainEUlNS5_IRdddSB_SB_SB_SB_SB_SB_SB_EEE_vEEEElLj1EEEvT0_T1_SL_
                                        ; -- End function
	.section	.AMDGPU.csdata,"",@progbits
; Kernel info:
; codeLenInByte = 268
; NumSgprs: 14
; NumVgprs: 8
; ScratchSize: 0
; MemoryBound: 0
; FloatMode: 240
; IeeeMode: 1
; LDSByteSize: 0 bytes/workgroup (compile time only)
; SGPRBlocks: 1
; VGPRBlocks: 0
; NumSGPRsForWavesPerEU: 14
; NumVGPRsForWavesPerEU: 8
; Occupancy: 16
; WaveLimiterHint : 0
; COMPUTE_PGM_RSRC2:SCRATCH_EN: 0
; COMPUTE_PGM_RSRC2:USER_SGPR: 2
; COMPUTE_PGM_RSRC2:TRAP_HANDLER: 0
; COMPUTE_PGM_RSRC2:TGID_X_EN: 1
; COMPUTE_PGM_RSRC2:TGID_Y_EN: 0
; COMPUTE_PGM_RSRC2:TGID_Z_EN: 0
; COMPUTE_PGM_RSRC2:TIDIG_COMP_CNT: 0
	.section	.text._ZN7rocprim6detail19block_reduce_kernelILb0ELb1ELj1ENS0_21wrapped_reduce_configINS_14default_configEdEEdPdS5_dN6thrust4plusIdEEEEvT4_mT5_T6_T7_,"axG",@progbits,_ZN7rocprim6detail19block_reduce_kernelILb0ELb1ELj1ENS0_21wrapped_reduce_configINS_14default_configEdEEdPdS5_dN6thrust4plusIdEEEEvT4_mT5_T6_T7_,comdat
	.protected	_ZN7rocprim6detail19block_reduce_kernelILb0ELb1ELj1ENS0_21wrapped_reduce_configINS_14default_configEdEEdPdS5_dN6thrust4plusIdEEEEvT4_mT5_T6_T7_ ; -- Begin function _ZN7rocprim6detail19block_reduce_kernelILb0ELb1ELj1ENS0_21wrapped_reduce_configINS_14default_configEdEEdPdS5_dN6thrust4plusIdEEEEvT4_mT5_T6_T7_
	.globl	_ZN7rocprim6detail19block_reduce_kernelILb0ELb1ELj1ENS0_21wrapped_reduce_configINS_14default_configEdEEdPdS5_dN6thrust4plusIdEEEEvT4_mT5_T6_T7_
	.p2align	8
	.type	_ZN7rocprim6detail19block_reduce_kernelILb0ELb1ELj1ENS0_21wrapped_reduce_configINS_14default_configEdEEdPdS5_dN6thrust4plusIdEEEEvT4_mT5_T6_T7_,@function
_ZN7rocprim6detail19block_reduce_kernelILb0ELb1ELj1ENS0_21wrapped_reduce_configINS_14default_configEdEEdPdS5_dN6thrust4plusIdEEEEvT4_mT5_T6_T7_: ; @_ZN7rocprim6detail19block_reduce_kernelILb0ELb1ELj1ENS0_21wrapped_reduce_configINS_14default_configEdEEdPdS5_dN6thrust4plusIdEEEEvT4_mT5_T6_T7_
; %bb.0:
	s_load_b256 s[12:19], s[0:1], 0x0
	s_mov_b32 s1, 0
	s_lshl_b32 s0, ttmp9, 12
	v_lshlrev_b32_e32 v1, 3, v0
	s_lshl_b64 s[2:3], s[0:1], 3
	s_mov_b32 s21, s1
	v_mbcnt_lo_u32_b32 v35, -1, 0
	s_mov_b32 s20, ttmp9
	s_wait_kmcnt 0x0
	s_add_nc_u64 s[2:3], s[12:13], s[2:3]
	s_lshr_b64 s[4:5], s[14:15], 12
	v_add_co_u32 v33, s1, s2, v1
	s_delay_alu instid0(VALU_DEP_1)
	v_add_co_ci_u32_e64 v34, null, s3, 0, s1
	s_cmp_lg_u64 s[4:5], s[20:21]
	s_cbranch_scc0 .LBB3_6
; %bb.1:
	s_clause 0x9
	global_load_b64 v[1:2], v[33:34], off
	global_load_b64 v[3:4], v[33:34], off offset:2048
	global_load_b64 v[5:6], v[33:34], off offset:4096
	;; [unrolled: 1-line block ×9, first 2 shown]
	s_mov_b32 s1, exec_lo
	s_wait_loadcnt 0x8
	v_add_f64_e32 v[1:2], v[1:2], v[3:4]
	global_load_b64 v[3:4], v[33:34], off offset:20480
	s_wait_loadcnt 0x8
	v_add_f64_e32 v[1:2], v[1:2], v[5:6]
	global_load_b64 v[5:6], v[33:34], off offset:22528
	;; [unrolled: 3-line block ×6, first 2 shown]
	s_wait_loadcnt 0x8
	v_add_f64_e32 v[1:2], v[1:2], v[15:16]
	s_wait_loadcnt 0x7
	s_delay_alu instid0(VALU_DEP_1) | instskip(SKIP_1) | instid1(VALU_DEP_1)
	v_add_f64_e32 v[1:2], v[1:2], v[17:18]
	s_wait_loadcnt 0x6
	v_add_f64_e32 v[1:2], v[1:2], v[19:20]
	s_wait_loadcnt 0x5
	s_delay_alu instid0(VALU_DEP_1) | instskip(SKIP_1) | instid1(VALU_DEP_1)
	v_add_f64_e32 v[1:2], v[1:2], v[3:4]
	;; [unrolled: 5-line block ×4, first 2 shown]
	s_wait_loadcnt 0x0
	v_add_f64_e32 v[1:2], v[1:2], v[13:14]
	s_delay_alu instid0(VALU_DEP_1) | instskip(NEXT) | instid1(VALU_DEP_2)
	v_mov_b32_dpp v3, v1 quad_perm:[1,0,3,2] row_mask:0xf bank_mask:0xf
	v_mov_b32_dpp v4, v2 quad_perm:[1,0,3,2] row_mask:0xf bank_mask:0xf
	s_delay_alu instid0(VALU_DEP_1) | instskip(NEXT) | instid1(VALU_DEP_1)
	v_add_f64_e32 v[1:2], v[1:2], v[3:4]
	v_mov_b32_dpp v3, v1 quad_perm:[2,3,0,1] row_mask:0xf bank_mask:0xf
	s_delay_alu instid0(VALU_DEP_2) | instskip(NEXT) | instid1(VALU_DEP_1)
	v_mov_b32_dpp v4, v2 quad_perm:[2,3,0,1] row_mask:0xf bank_mask:0xf
	v_add_f64_e32 v[1:2], v[1:2], v[3:4]
	s_delay_alu instid0(VALU_DEP_1) | instskip(NEXT) | instid1(VALU_DEP_2)
	v_mov_b32_dpp v3, v1 row_ror:4 row_mask:0xf bank_mask:0xf
	v_mov_b32_dpp v4, v2 row_ror:4 row_mask:0xf bank_mask:0xf
	s_delay_alu instid0(VALU_DEP_1) | instskip(NEXT) | instid1(VALU_DEP_1)
	v_add_f64_e32 v[1:2], v[1:2], v[3:4]
	v_mov_b32_dpp v3, v1 row_ror:8 row_mask:0xf bank_mask:0xf
	s_delay_alu instid0(VALU_DEP_2) | instskip(NEXT) | instid1(VALU_DEP_1)
	v_mov_b32_dpp v4, v2 row_ror:8 row_mask:0xf bank_mask:0xf
	v_add_f64_e32 v[1:2], v[1:2], v[3:4]
	ds_swizzle_b32 v3, v1 offset:swizzle(BROADCAST,32,15)
	ds_swizzle_b32 v4, v2 offset:swizzle(BROADCAST,32,15)
	s_wait_dscnt 0x0
	v_add_f64_e32 v[1:2], v[1:2], v[3:4]
	v_mov_b32_e32 v3, 0
	ds_bpermute_b32 v1, v3, v1 offset:124
	ds_bpermute_b32 v2, v3, v2 offset:124
	v_cmpx_eq_u32_e32 0, v35
	s_cbranch_execz .LBB3_3
; %bb.2:
	v_lshrrev_b32_e32 v3, 2, v0
	s_delay_alu instid0(VALU_DEP_1)
	v_and_b32_e32 v3, 56, v3
	s_wait_dscnt 0x0
	ds_store_b64 v3, v[1:2]
.LBB3_3:
	s_wait_alu 0xfffe
	s_or_b32 exec_lo, exec_lo, s1
	s_delay_alu instid0(SALU_CYCLE_1)
	s_mov_b32 s1, exec_lo
	global_wb scope:SCOPE_SE
	s_wait_dscnt 0x0
	s_barrier_signal -1
	s_barrier_wait -1
	global_inv scope:SCOPE_SE
	v_cmpx_gt_u32_e32 32, v0
	s_cbranch_execz .LBB3_5
; %bb.4:
	v_and_b32_e32 v5, 7, v35
	s_delay_alu instid0(VALU_DEP_1) | instskip(SKIP_4) | instid1(VALU_DEP_2)
	v_lshlrev_b32_e32 v1, 3, v5
	v_cmp_ne_u32_e32 vcc_lo, 7, v5
	ds_load_b64 v[1:2], v1
	v_add_co_ci_u32_e32 v3, vcc_lo, 0, v35, vcc_lo
	v_cmp_gt_u32_e32 vcc_lo, 6, v5
	v_lshlrev_b32_e32 v4, 2, v3
	s_wait_dscnt 0x0
	ds_bpermute_b32 v3, v4, v1
	ds_bpermute_b32 v4, v4, v2
	s_wait_dscnt 0x0
	v_add_f64_e32 v[1:2], v[1:2], v[3:4]
	s_wait_alu 0xfffd
	v_cndmask_b32_e64 v3, 0, 1, vcc_lo
	v_cmp_gt_u32_e32 vcc_lo, 4, v5
	s_delay_alu instid0(VALU_DEP_2) | instskip(NEXT) | instid1(VALU_DEP_1)
	v_lshlrev_b32_e32 v3, 1, v3
	v_add_lshl_u32 v4, v3, v35, 2
	ds_bpermute_b32 v3, v4, v1
	ds_bpermute_b32 v4, v4, v2
	s_wait_dscnt 0x0
	v_add_f64_e32 v[1:2], v[1:2], v[3:4]
	s_wait_alu 0xfffd
	v_cndmask_b32_e64 v3, 0, 1, vcc_lo
	s_delay_alu instid0(VALU_DEP_1) | instskip(NEXT) | instid1(VALU_DEP_1)
	v_lshlrev_b32_e32 v3, 2, v3
	v_add_lshl_u32 v4, v3, v35, 2
	ds_bpermute_b32 v3, v4, v1
	ds_bpermute_b32 v4, v4, v2
	s_wait_dscnt 0x0
	v_add_f64_e32 v[1:2], v[1:2], v[3:4]
.LBB3_5:
	s_wait_alu 0xfffe
	s_or_b32 exec_lo, exec_lo, s1
	s_branch .LBB3_60
.LBB3_6:
                                        ; implicit-def: $vgpr1_vgpr2
	s_cbranch_execz .LBB3_60
; %bb.7:
	s_sub_co_i32 s22, s14, s0
	s_mov_b32 s0, exec_lo
                                        ; implicit-def: $vgpr1_vgpr2_vgpr3_vgpr4_vgpr5_vgpr6_vgpr7_vgpr8_vgpr9_vgpr10_vgpr11_vgpr12_vgpr13_vgpr14_vgpr15_vgpr16_vgpr17_vgpr18_vgpr19_vgpr20_vgpr21_vgpr22_vgpr23_vgpr24_vgpr25_vgpr26_vgpr27_vgpr28_vgpr29_vgpr30_vgpr31_vgpr32
	v_cmpx_gt_u32_e64 s22, v0
	s_cbranch_execz .LBB3_9
; %bb.8:
	global_load_b64 v[1:2], v[33:34], off
.LBB3_9:
	s_wait_alu 0xfffe
	s_or_b32 exec_lo, exec_lo, s0
	v_or_b32_e32 v36, 0x100, v0
	s_delay_alu instid0(VALU_DEP_1)
	v_cmp_gt_u32_e32 vcc_lo, s22, v36
	s_and_saveexec_b32 s0, vcc_lo
	s_cbranch_execz .LBB3_11
; %bb.10:
	global_load_b64 v[3:4], v[33:34], off offset:2048
.LBB3_11:
	s_wait_alu 0xfffe
	s_or_b32 exec_lo, exec_lo, s0
	v_or_b32_e32 v36, 0x200, v0
	s_delay_alu instid0(VALU_DEP_1) | instskip(NEXT) | instid1(VALU_DEP_1)
	v_cmp_gt_u32_e64 s0, s22, v36
	s_and_saveexec_b32 s1, s0
	s_cbranch_execz .LBB3_13
; %bb.12:
	global_load_b64 v[5:6], v[33:34], off offset:4096
.LBB3_13:
	s_wait_alu 0xfffe
	s_or_b32 exec_lo, exec_lo, s1
	v_or_b32_e32 v36, 0x300, v0
	s_delay_alu instid0(VALU_DEP_1) | instskip(NEXT) | instid1(VALU_DEP_1)
	v_cmp_gt_u32_e64 s1, s22, v36
	s_and_saveexec_b32 s2, s1
	;; [unrolled: 10-line block ×4, first 2 shown]
	s_cbranch_execz .LBB3_19
; %bb.18:
	global_load_b64 v[11:12], v[33:34], off offset:10240
.LBB3_19:
	s_or_b32 exec_lo, exec_lo, s4
	v_or_b32_e32 v36, 0x600, v0
	s_delay_alu instid0(VALU_DEP_1) | instskip(NEXT) | instid1(VALU_DEP_1)
	v_cmp_gt_u32_e64 s4, s22, v36
	s_and_saveexec_b32 s5, s4
	s_cbranch_execz .LBB3_21
; %bb.20:
	global_load_b64 v[13:14], v[33:34], off offset:12288
.LBB3_21:
	s_or_b32 exec_lo, exec_lo, s5
	v_or_b32_e32 v36, 0x700, v0
	s_delay_alu instid0(VALU_DEP_1) | instskip(NEXT) | instid1(VALU_DEP_1)
	v_cmp_gt_u32_e64 s5, s22, v36
	s_and_saveexec_b32 s6, s5
	;; [unrolled: 9-line block ×10, first 2 shown]
	s_cbranch_execz .LBB3_39
; %bb.38:
	global_load_b64 v[31:32], v[33:34], off offset:30720
.LBB3_39:
	s_wait_alu 0xfffe
	s_or_b32 exec_lo, exec_lo, s23
	s_wait_loadcnt 0x0
	v_add_f64_e32 v[3:4], v[1:2], v[3:4]
	s_delay_alu instid0(VALU_DEP_1) | instskip(SKIP_1) | instid1(VALU_DEP_2)
	v_dual_cndmask_b32 v2, v2, v4 :: v_dual_cndmask_b32 v1, v1, v3
	v_cmp_ne_u32_e32 vcc_lo, 31, v35
	v_add_f64_e32 v[3:4], v[5:6], v[1:2]
	s_wait_alu 0xfffd
	v_add_co_ci_u32_e32 v5, vcc_lo, 0, v35, vcc_lo
	v_add_nc_u32_e32 v6, 1, v35
	s_delay_alu instid0(VALU_DEP_2) | instskip(NEXT) | instid1(VALU_DEP_4)
	v_lshlrev_b32_e32 v5, 2, v5
	v_cndmask_b32_e64 v2, v2, v4, s0
	v_cndmask_b32_e64 v1, v1, v3, s0
	s_min_u32 s0, s22, 0x100
	s_delay_alu instid0(VALU_DEP_1) | instskip(NEXT) | instid1(VALU_DEP_1)
	v_add_f64_e32 v[3:4], v[7:8], v[1:2]
	v_cndmask_b32_e64 v2, v2, v4, s1
	s_delay_alu instid0(VALU_DEP_2) | instskip(SKIP_1) | instid1(VALU_DEP_1)
	v_cndmask_b32_e64 v1, v1, v3, s1
	s_mov_b32 s1, exec_lo
	v_add_f64_e32 v[3:4], v[9:10], v[1:2]
	s_delay_alu instid0(VALU_DEP_1) | instskip(NEXT) | instid1(VALU_DEP_2)
	v_cndmask_b32_e64 v2, v2, v4, s2
	v_cndmask_b32_e64 v1, v1, v3, s2
	s_delay_alu instid0(VALU_DEP_1) | instskip(NEXT) | instid1(VALU_DEP_1)
	v_add_f64_e32 v[3:4], v[11:12], v[1:2]
	v_cndmask_b32_e64 v2, v2, v4, s3
	s_delay_alu instid0(VALU_DEP_2) | instskip(NEXT) | instid1(VALU_DEP_1)
	v_cndmask_b32_e64 v1, v1, v3, s3
	v_add_f64_e32 v[3:4], v[13:14], v[1:2]
	s_delay_alu instid0(VALU_DEP_1) | instskip(NEXT) | instid1(VALU_DEP_2)
	v_cndmask_b32_e64 v2, v2, v4, s4
	v_cndmask_b32_e64 v1, v1, v3, s4
	s_delay_alu instid0(VALU_DEP_1) | instskip(NEXT) | instid1(VALU_DEP_1)
	v_add_f64_e32 v[3:4], v[15:16], v[1:2]
	v_cndmask_b32_e64 v2, v2, v4, s5
	s_delay_alu instid0(VALU_DEP_2) | instskip(NEXT) | instid1(VALU_DEP_1)
	v_cndmask_b32_e64 v1, v1, v3, s5
	v_add_f64_e32 v[3:4], v[17:18], v[1:2]
	s_delay_alu instid0(VALU_DEP_1) | instskip(NEXT) | instid1(VALU_DEP_2)
	v_cndmask_b32_e64 v2, v2, v4, s6
	v_cndmask_b32_e64 v1, v1, v3, s6
	s_delay_alu instid0(VALU_DEP_1) | instskip(NEXT) | instid1(VALU_DEP_1)
	v_add_f64_e32 v[3:4], v[19:20], v[1:2]
	v_cndmask_b32_e64 v2, v2, v4, s7
	s_delay_alu instid0(VALU_DEP_2) | instskip(NEXT) | instid1(VALU_DEP_1)
	v_cndmask_b32_e64 v1, v1, v3, s7
	v_add_f64_e32 v[3:4], v[21:22], v[1:2]
	s_delay_alu instid0(VALU_DEP_1) | instskip(NEXT) | instid1(VALU_DEP_2)
	v_cndmask_b32_e64 v2, v2, v4, s8
	v_cndmask_b32_e64 v1, v1, v3, s8
	s_delay_alu instid0(VALU_DEP_1) | instskip(NEXT) | instid1(VALU_DEP_1)
	v_add_f64_e32 v[3:4], v[23:24], v[1:2]
	v_cndmask_b32_e64 v2, v2, v4, s9
	s_delay_alu instid0(VALU_DEP_2) | instskip(NEXT) | instid1(VALU_DEP_1)
	v_cndmask_b32_e64 v1, v1, v3, s9
	v_add_f64_e32 v[3:4], v[25:26], v[1:2]
	s_delay_alu instid0(VALU_DEP_1) | instskip(NEXT) | instid1(VALU_DEP_2)
	v_cndmask_b32_e64 v2, v2, v4, s10
	v_cndmask_b32_e64 v1, v1, v3, s10
	s_delay_alu instid0(VALU_DEP_1) | instskip(NEXT) | instid1(VALU_DEP_1)
	v_add_f64_e32 v[3:4], v[27:28], v[1:2]
	v_cndmask_b32_e64 v2, v2, v4, s11
	s_delay_alu instid0(VALU_DEP_2) | instskip(NEXT) | instid1(VALU_DEP_1)
	v_cndmask_b32_e64 v1, v1, v3, s11
	v_add_f64_e32 v[3:4], v[29:30], v[1:2]
	s_delay_alu instid0(VALU_DEP_1) | instskip(NEXT) | instid1(VALU_DEP_2)
	v_cndmask_b32_e64 v2, v2, v4, s12
	v_cndmask_b32_e64 v1, v1, v3, s12
	s_delay_alu instid0(VALU_DEP_1) | instskip(NEXT) | instid1(VALU_DEP_1)
	v_add_f64_e32 v[3:4], v[31:32], v[1:2]
	v_cndmask_b32_e64 v1, v1, v3, s13
	s_delay_alu instid0(VALU_DEP_2) | instskip(SKIP_4) | instid1(VALU_DEP_1)
	v_cndmask_b32_e64 v2, v2, v4, s13
	ds_bpermute_b32 v3, v5, v1
	ds_bpermute_b32 v4, v5, v2
	v_and_b32_e32 v5, 0xe0, v0
	s_wait_alu 0xfffe
	v_sub_nc_u32_e64 v5, s0, v5 clamp
	s_delay_alu instid0(VALU_DEP_1)
	v_cmpx_lt_u32_e64 v6, v5
	s_cbranch_execz .LBB3_41
; %bb.40:
	s_wait_dscnt 0x0
	v_add_f64_e32 v[1:2], v[1:2], v[3:4]
.LBB3_41:
	s_or_b32 exec_lo, exec_lo, s1
	v_cmp_gt_u32_e32 vcc_lo, 30, v35
	v_add_nc_u32_e32 v6, 2, v35
	s_mov_b32 s1, exec_lo
	s_wait_dscnt 0x1
	s_wait_alu 0xfffd
	v_cndmask_b32_e64 v3, 0, 1, vcc_lo
	s_delay_alu instid0(VALU_DEP_1) | instskip(SKIP_1) | instid1(VALU_DEP_1)
	v_lshlrev_b32_e32 v3, 1, v3
	s_wait_dscnt 0x0
	v_add_lshl_u32 v4, v3, v35, 2
	ds_bpermute_b32 v3, v4, v1
	ds_bpermute_b32 v4, v4, v2
	v_cmpx_lt_u32_e64 v6, v5
	s_cbranch_execz .LBB3_43
; %bb.42:
	s_wait_dscnt 0x0
	v_add_f64_e32 v[1:2], v[1:2], v[3:4]
.LBB3_43:
	s_wait_alu 0xfffe
	s_or_b32 exec_lo, exec_lo, s1
	v_cmp_gt_u32_e32 vcc_lo, 28, v35
	v_add_nc_u32_e32 v6, 4, v35
	s_mov_b32 s1, exec_lo
	s_wait_dscnt 0x1
	s_wait_alu 0xfffd
	v_cndmask_b32_e64 v3, 0, 1, vcc_lo
	s_delay_alu instid0(VALU_DEP_1) | instskip(SKIP_1) | instid1(VALU_DEP_1)
	v_lshlrev_b32_e32 v3, 2, v3
	s_wait_dscnt 0x0
	v_add_lshl_u32 v4, v3, v35, 2
	ds_bpermute_b32 v3, v4, v1
	ds_bpermute_b32 v4, v4, v2
	v_cmpx_lt_u32_e64 v6, v5
	s_cbranch_execz .LBB3_45
; %bb.44:
	s_wait_dscnt 0x0
	v_add_f64_e32 v[1:2], v[1:2], v[3:4]
.LBB3_45:
	s_wait_alu 0xfffe
	s_or_b32 exec_lo, exec_lo, s1
	v_cmp_gt_u32_e32 vcc_lo, 24, v35
	v_add_nc_u32_e32 v6, 8, v35
	s_mov_b32 s1, exec_lo
	s_wait_dscnt 0x1
	s_wait_alu 0xfffd
	v_cndmask_b32_e64 v3, 0, 1, vcc_lo
	s_delay_alu instid0(VALU_DEP_1) | instskip(SKIP_1) | instid1(VALU_DEP_1)
	v_lshlrev_b32_e32 v3, 3, v3
	s_wait_dscnt 0x0
	v_add_lshl_u32 v4, v3, v35, 2
	ds_bpermute_b32 v3, v4, v1
	ds_bpermute_b32 v4, v4, v2
	v_cmpx_lt_u32_e64 v6, v5
	s_cbranch_execz .LBB3_47
; %bb.46:
	s_wait_dscnt 0x0
	v_add_f64_e32 v[1:2], v[1:2], v[3:4]
.LBB3_47:
	s_wait_alu 0xfffe
	s_or_b32 exec_lo, exec_lo, s1
	v_cmp_gt_u32_e32 vcc_lo, 16, v35
	v_add_nc_u32_e32 v6, 16, v35
	s_mov_b32 s1, exec_lo
	s_wait_dscnt 0x1
	s_wait_alu 0xfffd
	v_cndmask_b32_e64 v3, 0, 1, vcc_lo
	s_delay_alu instid0(VALU_DEP_1) | instskip(SKIP_1) | instid1(VALU_DEP_1)
	v_lshlrev_b32_e32 v3, 4, v3
	s_wait_dscnt 0x0
	v_add_lshl_u32 v4, v3, v35, 2
	ds_bpermute_b32 v3, v4, v1
	ds_bpermute_b32 v4, v4, v2
	v_cmpx_lt_u32_e64 v6, v5
	s_cbranch_execz .LBB3_49
; %bb.48:
	s_wait_dscnt 0x0
	v_add_f64_e32 v[1:2], v[1:2], v[3:4]
.LBB3_49:
	s_wait_alu 0xfffe
	s_or_b32 exec_lo, exec_lo, s1
	s_delay_alu instid0(SALU_CYCLE_1)
	s_mov_b32 s1, exec_lo
	v_cmpx_eq_u32_e32 0, v35
	s_cbranch_execz .LBB3_51
; %bb.50:
	s_wait_dscnt 0x1
	v_lshrrev_b32_e32 v3, 2, v0
	s_delay_alu instid0(VALU_DEP_1)
	v_and_b32_e32 v3, 56, v3
	ds_store_b64 v3, v[1:2] offset:64
.LBB3_51:
	s_wait_alu 0xfffe
	s_or_b32 exec_lo, exec_lo, s1
	s_delay_alu instid0(SALU_CYCLE_1)
	s_mov_b32 s1, exec_lo
	global_wb scope:SCOPE_SE
	s_wait_dscnt 0x0
	s_barrier_signal -1
	s_barrier_wait -1
	global_inv scope:SCOPE_SE
	v_cmpx_gt_u32_e32 8, v0
	s_cbranch_execz .LBB3_59
; %bb.52:
	v_lshlrev_b32_e32 v1, 3, v35
	v_and_b32_e32 v5, 7, v35
	s_add_co_i32 s0, s0, 31
	s_mov_b32 s2, exec_lo
	s_wait_alu 0xfffe
	s_lshr_b32 s0, s0, 5
	ds_load_b64 v[1:2], v1 offset:64
	v_cmp_ne_u32_e32 vcc_lo, 7, v5
	v_add_nc_u32_e32 v6, 1, v5
	s_wait_alu 0xfffd
	v_add_co_ci_u32_e32 v3, vcc_lo, 0, v35, vcc_lo
	s_delay_alu instid0(VALU_DEP_1)
	v_lshlrev_b32_e32 v4, 2, v3
	s_wait_dscnt 0x0
	ds_bpermute_b32 v3, v4, v1
	ds_bpermute_b32 v4, v4, v2
	s_wait_alu 0xfffe
	v_cmpx_gt_u32_e64 s0, v6
	s_cbranch_execz .LBB3_54
; %bb.53:
	s_wait_dscnt 0x0
	v_add_f64_e32 v[1:2], v[1:2], v[3:4]
.LBB3_54:
	s_or_b32 exec_lo, exec_lo, s2
	v_cmp_gt_u32_e32 vcc_lo, 6, v5
	v_add_nc_u32_e32 v6, 2, v5
	s_mov_b32 s2, exec_lo
	s_wait_dscnt 0x1
	s_wait_alu 0xfffd
	v_cndmask_b32_e64 v3, 0, 1, vcc_lo
	s_delay_alu instid0(VALU_DEP_1) | instskip(SKIP_1) | instid1(VALU_DEP_1)
	v_lshlrev_b32_e32 v3, 1, v3
	s_wait_dscnt 0x0
	v_add_lshl_u32 v4, v3, v35, 2
	ds_bpermute_b32 v3, v4, v1
	ds_bpermute_b32 v4, v4, v2
	v_cmpx_gt_u32_e64 s0, v6
	s_cbranch_execz .LBB3_56
; %bb.55:
	s_wait_dscnt 0x0
	v_add_f64_e32 v[1:2], v[1:2], v[3:4]
.LBB3_56:
	s_wait_alu 0xfffe
	s_or_b32 exec_lo, exec_lo, s2
	v_cmp_gt_u32_e32 vcc_lo, 4, v5
	v_add_nc_u32_e32 v5, 4, v5
	s_wait_dscnt 0x1
	s_wait_alu 0xfffd
	v_cndmask_b32_e64 v3, 0, 1, vcc_lo
	s_delay_alu instid0(VALU_DEP_2) | instskip(NEXT) | instid1(VALU_DEP_2)
	v_cmp_gt_u32_e32 vcc_lo, s0, v5
	v_lshlrev_b32_e32 v3, 2, v3
	s_wait_dscnt 0x0
	s_delay_alu instid0(VALU_DEP_1)
	v_add_lshl_u32 v4, v3, v35, 2
	ds_bpermute_b32 v3, v4, v1
	ds_bpermute_b32 v4, v4, v2
	s_and_saveexec_b32 s0, vcc_lo
	s_cbranch_execz .LBB3_58
; %bb.57:
	s_wait_dscnt 0x0
	v_add_f64_e32 v[1:2], v[1:2], v[3:4]
.LBB3_58:
	s_wait_alu 0xfffe
	s_or_b32 exec_lo, exec_lo, s0
.LBB3_59:
	s_wait_alu 0xfffe
	s_or_b32 exec_lo, exec_lo, s1
.LBB3_60:
	s_delay_alu instid0(SALU_CYCLE_1)
	s_mov_b32 s0, exec_lo
	v_cmpx_eq_u32_e32 0, v0
	s_cbranch_execz .LBB3_62
; %bb.61:
	s_lshl_b64 s[0:1], s[20:21], 3
	s_cmp_eq_u64 s[14:15], 0
	v_mov_b32_e32 v0, 0
	s_cselect_b32 s2, -1, 0
	s_wait_alu 0xfffe
	s_add_nc_u64 s[0:1], s[16:17], s[0:1]
	s_delay_alu instid0(VALU_DEP_3) | instskip(NEXT) | instid1(VALU_DEP_4)
	v_cndmask_b32_e64 v2, v2, s19, s2
	v_cndmask_b32_e64 v1, v1, s18, s2
	global_store_b64 v0, v[1:2], s[0:1]
.LBB3_62:
	s_nop 0
	s_sendmsg sendmsg(MSG_DEALLOC_VGPRS)
	s_endpgm
	.section	.rodata,"a",@progbits
	.p2align	6, 0x0
	.amdhsa_kernel _ZN7rocprim6detail19block_reduce_kernelILb0ELb1ELj1ENS0_21wrapped_reduce_configINS_14default_configEdEEdPdS5_dN6thrust4plusIdEEEEvT4_mT5_T6_T7_
		.amdhsa_group_segment_fixed_size 128
		.amdhsa_private_segment_fixed_size 0
		.amdhsa_kernarg_size 36
		.amdhsa_user_sgpr_count 2
		.amdhsa_user_sgpr_dispatch_ptr 0
		.amdhsa_user_sgpr_queue_ptr 0
		.amdhsa_user_sgpr_kernarg_segment_ptr 1
		.amdhsa_user_sgpr_dispatch_id 0
		.amdhsa_user_sgpr_private_segment_size 0
		.amdhsa_wavefront_size32 1
		.amdhsa_uses_dynamic_stack 0
		.amdhsa_enable_private_segment 0
		.amdhsa_system_sgpr_workgroup_id_x 1
		.amdhsa_system_sgpr_workgroup_id_y 0
		.amdhsa_system_sgpr_workgroup_id_z 0
		.amdhsa_system_sgpr_workgroup_info 0
		.amdhsa_system_vgpr_workitem_id 0
		.amdhsa_next_free_vgpr 37
		.amdhsa_next_free_sgpr 24
		.amdhsa_reserve_vcc 1
		.amdhsa_float_round_mode_32 0
		.amdhsa_float_round_mode_16_64 0
		.amdhsa_float_denorm_mode_32 3
		.amdhsa_float_denorm_mode_16_64 3
		.amdhsa_fp16_overflow 0
		.amdhsa_workgroup_processor_mode 1
		.amdhsa_memory_ordered 1
		.amdhsa_forward_progress 0
		.amdhsa_round_robin_scheduling 0
		.amdhsa_exception_fp_ieee_invalid_op 0
		.amdhsa_exception_fp_denorm_src 0
		.amdhsa_exception_fp_ieee_div_zero 0
		.amdhsa_exception_fp_ieee_overflow 0
		.amdhsa_exception_fp_ieee_underflow 0
		.amdhsa_exception_fp_ieee_inexact 0
		.amdhsa_exception_int_div_zero 0
	.end_amdhsa_kernel
	.section	.text._ZN7rocprim6detail19block_reduce_kernelILb0ELb1ELj1ENS0_21wrapped_reduce_configINS_14default_configEdEEdPdS5_dN6thrust4plusIdEEEEvT4_mT5_T6_T7_,"axG",@progbits,_ZN7rocprim6detail19block_reduce_kernelILb0ELb1ELj1ENS0_21wrapped_reduce_configINS_14default_configEdEEdPdS5_dN6thrust4plusIdEEEEvT4_mT5_T6_T7_,comdat
.Lfunc_end3:
	.size	_ZN7rocprim6detail19block_reduce_kernelILb0ELb1ELj1ENS0_21wrapped_reduce_configINS_14default_configEdEEdPdS5_dN6thrust4plusIdEEEEvT4_mT5_T6_T7_, .Lfunc_end3-_ZN7rocprim6detail19block_reduce_kernelILb0ELb1ELj1ENS0_21wrapped_reduce_configINS_14default_configEdEEdPdS5_dN6thrust4plusIdEEEEvT4_mT5_T6_T7_
                                        ; -- End function
	.section	.AMDGPU.csdata,"",@progbits
; Kernel info:
; codeLenInByte = 2888
; NumSgprs: 26
; NumVgprs: 37
; ScratchSize: 0
; MemoryBound: 1
; FloatMode: 240
; IeeeMode: 1
; LDSByteSize: 128 bytes/workgroup (compile time only)
; SGPRBlocks: 3
; VGPRBlocks: 4
; NumSGPRsForWavesPerEU: 26
; NumVGPRsForWavesPerEU: 37
; Occupancy: 16
; WaveLimiterHint : 1
; COMPUTE_PGM_RSRC2:SCRATCH_EN: 0
; COMPUTE_PGM_RSRC2:USER_SGPR: 2
; COMPUTE_PGM_RSRC2:TRAP_HANDLER: 0
; COMPUTE_PGM_RSRC2:TGID_X_EN: 1
; COMPUTE_PGM_RSRC2:TGID_Y_EN: 0
; COMPUTE_PGM_RSRC2:TGID_Z_EN: 0
; COMPUTE_PGM_RSRC2:TIDIG_COMP_CNT: 0
	.section	.text._ZN7rocprim6detail19block_reduce_kernelILb1ELb1ELj2ENS0_21wrapped_reduce_configINS_14default_configEdEEdPdS5_dN6thrust4plusIdEEEEvT4_mT5_T6_T7_,"axG",@progbits,_ZN7rocprim6detail19block_reduce_kernelILb1ELb1ELj2ENS0_21wrapped_reduce_configINS_14default_configEdEEdPdS5_dN6thrust4plusIdEEEEvT4_mT5_T6_T7_,comdat
	.protected	_ZN7rocprim6detail19block_reduce_kernelILb1ELb1ELj2ENS0_21wrapped_reduce_configINS_14default_configEdEEdPdS5_dN6thrust4plusIdEEEEvT4_mT5_T6_T7_ ; -- Begin function _ZN7rocprim6detail19block_reduce_kernelILb1ELb1ELj2ENS0_21wrapped_reduce_configINS_14default_configEdEEdPdS5_dN6thrust4plusIdEEEEvT4_mT5_T6_T7_
	.globl	_ZN7rocprim6detail19block_reduce_kernelILb1ELb1ELj2ENS0_21wrapped_reduce_configINS_14default_configEdEEdPdS5_dN6thrust4plusIdEEEEvT4_mT5_T6_T7_
	.p2align	8
	.type	_ZN7rocprim6detail19block_reduce_kernelILb1ELb1ELj2ENS0_21wrapped_reduce_configINS_14default_configEdEEdPdS5_dN6thrust4plusIdEEEEvT4_mT5_T6_T7_,@function
_ZN7rocprim6detail19block_reduce_kernelILb1ELb1ELj2ENS0_21wrapped_reduce_configINS_14default_configEdEEdPdS5_dN6thrust4plusIdEEEEvT4_mT5_T6_T7_: ; @_ZN7rocprim6detail19block_reduce_kernelILb1ELb1ELj2ENS0_21wrapped_reduce_configINS_14default_configEdEEdPdS5_dN6thrust4plusIdEEEEvT4_mT5_T6_T7_
; %bb.0:
	s_load_b256 s[36:43], s[0:1], 0x0
	s_mov_b32 s1, 0
	s_lshl_b32 s0, ttmp9, 13
	v_lshlrev_b32_e32 v1, 3, v0
	s_lshl_b64 s[2:3], s[0:1], 3
	s_mov_b32 s31, s1
	v_mbcnt_lo_u32_b32 v67, -1, 0
	s_mov_b32 s30, ttmp9
	s_wait_kmcnt 0x0
	s_add_nc_u64 s[2:3], s[36:37], s[2:3]
	s_lshr_b64 s[4:5], s[38:39], 13
	v_add_co_u32 v1, s1, s2, v1
	s_delay_alu instid0(VALU_DEP_1)
	v_add_co_ci_u32_e64 v2, null, s3, 0, s1
	s_cmp_lg_u64 s[4:5], s[30:31]
	s_cbranch_scc0 .LBB4_6
; %bb.1:
	s_clause 0x9
	global_load_b64 v[3:4], v[1:2], off
	global_load_b64 v[5:6], v[1:2], off offset:2048
	global_load_b64 v[7:8], v[1:2], off offset:4096
	;; [unrolled: 1-line block ×9, first 2 shown]
	s_mov_b32 s1, exec_lo
	s_wait_loadcnt 0x8
	v_add_f64_e32 v[3:4], v[3:4], v[5:6]
	global_load_b64 v[5:6], v[1:2], off offset:20480
	s_wait_loadcnt 0x8
	v_add_f64_e32 v[3:4], v[3:4], v[7:8]
	global_load_b64 v[7:8], v[1:2], off offset:22528
	;; [unrolled: 3-line block ×22, first 2 shown]
	s_wait_loadcnt 0x8
	v_add_f64_e32 v[3:4], v[3:4], v[13:14]
	s_wait_loadcnt 0x7
	s_delay_alu instid0(VALU_DEP_1) | instskip(SKIP_1) | instid1(VALU_DEP_1)
	v_add_f64_e32 v[3:4], v[3:4], v[15:16]
	s_wait_loadcnt 0x6
	v_add_f64_e32 v[3:4], v[3:4], v[17:18]
	s_wait_loadcnt 0x5
	s_delay_alu instid0(VALU_DEP_1) | instskip(SKIP_1) | instid1(VALU_DEP_1)
	v_add_f64_e32 v[3:4], v[3:4], v[19:20]
	;; [unrolled: 5-line block ×4, first 2 shown]
	s_wait_loadcnt 0x0
	v_add_f64_e32 v[3:4], v[3:4], v[11:12]
	s_delay_alu instid0(VALU_DEP_1) | instskip(NEXT) | instid1(VALU_DEP_2)
	v_mov_b32_dpp v5, v3 quad_perm:[1,0,3,2] row_mask:0xf bank_mask:0xf
	v_mov_b32_dpp v6, v4 quad_perm:[1,0,3,2] row_mask:0xf bank_mask:0xf
	s_delay_alu instid0(VALU_DEP_1) | instskip(NEXT) | instid1(VALU_DEP_1)
	v_add_f64_e32 v[3:4], v[3:4], v[5:6]
	v_mov_b32_dpp v5, v3 quad_perm:[2,3,0,1] row_mask:0xf bank_mask:0xf
	s_delay_alu instid0(VALU_DEP_2) | instskip(NEXT) | instid1(VALU_DEP_1)
	v_mov_b32_dpp v6, v4 quad_perm:[2,3,0,1] row_mask:0xf bank_mask:0xf
	v_add_f64_e32 v[3:4], v[3:4], v[5:6]
	s_delay_alu instid0(VALU_DEP_1) | instskip(NEXT) | instid1(VALU_DEP_2)
	v_mov_b32_dpp v5, v3 row_ror:4 row_mask:0xf bank_mask:0xf
	v_mov_b32_dpp v6, v4 row_ror:4 row_mask:0xf bank_mask:0xf
	s_delay_alu instid0(VALU_DEP_1) | instskip(NEXT) | instid1(VALU_DEP_1)
	v_add_f64_e32 v[3:4], v[3:4], v[5:6]
	v_mov_b32_dpp v5, v3 row_ror:8 row_mask:0xf bank_mask:0xf
	s_delay_alu instid0(VALU_DEP_2) | instskip(NEXT) | instid1(VALU_DEP_1)
	v_mov_b32_dpp v6, v4 row_ror:8 row_mask:0xf bank_mask:0xf
	v_add_f64_e32 v[3:4], v[3:4], v[5:6]
	ds_swizzle_b32 v5, v3 offset:swizzle(BROADCAST,32,15)
	ds_swizzle_b32 v6, v4 offset:swizzle(BROADCAST,32,15)
	s_wait_dscnt 0x0
	v_add_f64_e32 v[3:4], v[3:4], v[5:6]
	v_mov_b32_e32 v5, 0
	ds_bpermute_b32 v3, v5, v3 offset:124
	ds_bpermute_b32 v4, v5, v4 offset:124
	v_cmpx_eq_u32_e32 0, v67
	s_cbranch_execz .LBB4_3
; %bb.2:
	v_lshrrev_b32_e32 v5, 2, v0
	s_delay_alu instid0(VALU_DEP_1)
	v_and_b32_e32 v5, 56, v5
	s_wait_dscnt 0x0
	ds_store_b64 v5, v[3:4]
.LBB4_3:
	s_wait_alu 0xfffe
	s_or_b32 exec_lo, exec_lo, s1
	s_delay_alu instid0(SALU_CYCLE_1)
	s_mov_b32 s1, exec_lo
	global_wb scope:SCOPE_SE
	s_wait_dscnt 0x0
	s_barrier_signal -1
	s_barrier_wait -1
	global_inv scope:SCOPE_SE
	v_cmpx_gt_u32_e32 32, v0
	s_cbranch_execz .LBB4_5
; %bb.4:
	v_and_b32_e32 v7, 7, v67
	s_delay_alu instid0(VALU_DEP_1) | instskip(SKIP_4) | instid1(VALU_DEP_2)
	v_lshlrev_b32_e32 v3, 3, v7
	v_cmp_ne_u32_e32 vcc_lo, 7, v7
	ds_load_b64 v[3:4], v3
	v_add_co_ci_u32_e32 v5, vcc_lo, 0, v67, vcc_lo
	v_cmp_gt_u32_e32 vcc_lo, 6, v7
	v_lshlrev_b32_e32 v6, 2, v5
	s_wait_dscnt 0x0
	ds_bpermute_b32 v5, v6, v3
	ds_bpermute_b32 v6, v6, v4
	s_wait_dscnt 0x0
	v_add_f64_e32 v[3:4], v[3:4], v[5:6]
	s_wait_alu 0xfffd
	v_cndmask_b32_e64 v5, 0, 1, vcc_lo
	v_cmp_gt_u32_e32 vcc_lo, 4, v7
	s_delay_alu instid0(VALU_DEP_2) | instskip(NEXT) | instid1(VALU_DEP_1)
	v_lshlrev_b32_e32 v5, 1, v5
	v_add_lshl_u32 v6, v5, v67, 2
	ds_bpermute_b32 v5, v6, v3
	ds_bpermute_b32 v6, v6, v4
	s_wait_dscnt 0x0
	v_add_f64_e32 v[3:4], v[3:4], v[5:6]
	s_wait_alu 0xfffd
	v_cndmask_b32_e64 v5, 0, 1, vcc_lo
	s_delay_alu instid0(VALU_DEP_1) | instskip(NEXT) | instid1(VALU_DEP_1)
	v_lshlrev_b32_e32 v5, 2, v5
	v_add_lshl_u32 v6, v5, v67, 2
	ds_bpermute_b32 v5, v6, v3
	ds_bpermute_b32 v6, v6, v4
	s_wait_dscnt 0x0
	v_add_f64_e32 v[3:4], v[3:4], v[5:6]
.LBB4_5:
	s_wait_alu 0xfffe
	s_or_b32 exec_lo, exec_lo, s1
	s_branch .LBB4_92
.LBB4_6:
                                        ; implicit-def: $vgpr3_vgpr4
	s_cbranch_execz .LBB4_92
; %bb.7:
	s_sub_co_i32 s33, s38, s0
	s_mov_b32 s0, exec_lo
                                        ; implicit-def: $vgpr3_vgpr4
	v_cmpx_gt_u32_e64 s33, v0
	s_cbranch_execz .LBB4_9
; %bb.8:
	global_load_b64 v[3:4], v[1:2], off
.LBB4_9:
	s_wait_alu 0xfffe
	s_or_b32 exec_lo, exec_lo, s0
	v_or_b32_e32 v5, 0x100, v0
	s_delay_alu instid0(VALU_DEP_1)
	v_cmp_gt_u32_e32 vcc_lo, s33, v5
                                        ; implicit-def: $vgpr5_vgpr6
	s_and_saveexec_b32 s0, vcc_lo
	s_cbranch_execz .LBB4_11
; %bb.10:
	global_load_b64 v[5:6], v[1:2], off offset:2048
.LBB4_11:
	s_wait_alu 0xfffe
	s_or_b32 exec_lo, exec_lo, s0
	v_or_b32_e32 v7, 0x200, v0
	s_delay_alu instid0(VALU_DEP_1) | instskip(NEXT) | instid1(VALU_DEP_1)
	v_cmp_gt_u32_e64 s0, s33, v7
                                        ; implicit-def: $vgpr7_vgpr8
	s_and_saveexec_b32 s1, s0
	s_cbranch_execz .LBB4_13
; %bb.12:
	global_load_b64 v[7:8], v[1:2], off offset:4096
.LBB4_13:
	s_wait_alu 0xfffe
	s_or_b32 exec_lo, exec_lo, s1
	v_or_b32_e32 v9, 0x300, v0
	s_delay_alu instid0(VALU_DEP_1) | instskip(NEXT) | instid1(VALU_DEP_1)
	v_cmp_gt_u32_e64 s1, s33, v9
                                        ; implicit-def: $vgpr9_vgpr10
	s_and_saveexec_b32 s2, s1
	s_cbranch_execz .LBB4_15
; %bb.14:
	global_load_b64 v[9:10], v[1:2], off offset:6144
.LBB4_15:
	s_wait_alu 0xfffe
	s_or_b32 exec_lo, exec_lo, s2
	v_or_b32_e32 v11, 0x400, v0
	s_delay_alu instid0(VALU_DEP_1) | instskip(NEXT) | instid1(VALU_DEP_1)
	v_cmp_gt_u32_e64 s2, s33, v11
                                        ; implicit-def: $vgpr11_vgpr12
	s_and_saveexec_b32 s3, s2
	s_cbranch_execz .LBB4_17
; %bb.16:
	global_load_b64 v[11:12], v[1:2], off offset:8192
.LBB4_17:
	s_wait_alu 0xfffe
	s_or_b32 exec_lo, exec_lo, s3
	v_or_b32_e32 v13, 0x500, v0
	s_delay_alu instid0(VALU_DEP_1) | instskip(NEXT) | instid1(VALU_DEP_1)
	v_cmp_gt_u32_e64 s3, s33, v13
                                        ; implicit-def: $vgpr13_vgpr14
	s_and_saveexec_b32 s4, s3
	s_cbranch_execz .LBB4_19
; %bb.18:
	global_load_b64 v[13:14], v[1:2], off offset:10240
.LBB4_19:
	s_or_b32 exec_lo, exec_lo, s4
	v_or_b32_e32 v15, 0x600, v0
	s_delay_alu instid0(VALU_DEP_1) | instskip(NEXT) | instid1(VALU_DEP_1)
	v_cmp_gt_u32_e64 s4, s33, v15
                                        ; implicit-def: $vgpr15_vgpr16
	s_and_saveexec_b32 s5, s4
	s_cbranch_execz .LBB4_21
; %bb.20:
	global_load_b64 v[15:16], v[1:2], off offset:12288
.LBB4_21:
	s_or_b32 exec_lo, exec_lo, s5
	v_or_b32_e32 v17, 0x700, v0
	s_delay_alu instid0(VALU_DEP_1) | instskip(NEXT) | instid1(VALU_DEP_1)
	v_cmp_gt_u32_e64 s5, s33, v17
                                        ; implicit-def: $vgpr17_vgpr18
	s_and_saveexec_b32 s6, s5
	s_cbranch_execz .LBB4_23
; %bb.22:
	global_load_b64 v[17:18], v[1:2], off offset:14336
.LBB4_23:
	s_or_b32 exec_lo, exec_lo, s6
	v_or_b32_e32 v19, 0x800, v0
	s_delay_alu instid0(VALU_DEP_1) | instskip(NEXT) | instid1(VALU_DEP_1)
	v_cmp_gt_u32_e64 s6, s33, v19
                                        ; implicit-def: $vgpr19_vgpr20
	s_and_saveexec_b32 s7, s6
	s_cbranch_execz .LBB4_25
; %bb.24:
	global_load_b64 v[19:20], v[1:2], off offset:16384
.LBB4_25:
	s_or_b32 exec_lo, exec_lo, s7
	v_or_b32_e32 v21, 0x900, v0
	s_delay_alu instid0(VALU_DEP_1) | instskip(NEXT) | instid1(VALU_DEP_1)
	v_cmp_gt_u32_e64 s7, s33, v21
                                        ; implicit-def: $vgpr21_vgpr22
	s_and_saveexec_b32 s8, s7
	s_cbranch_execz .LBB4_27
; %bb.26:
	global_load_b64 v[21:22], v[1:2], off offset:18432
.LBB4_27:
	s_or_b32 exec_lo, exec_lo, s8
	v_or_b32_e32 v23, 0xa00, v0
	s_delay_alu instid0(VALU_DEP_1) | instskip(NEXT) | instid1(VALU_DEP_1)
	v_cmp_gt_u32_e64 s8, s33, v23
                                        ; implicit-def: $vgpr23_vgpr24
	s_and_saveexec_b32 s9, s8
	s_cbranch_execz .LBB4_29
; %bb.28:
	global_load_b64 v[23:24], v[1:2], off offset:20480
.LBB4_29:
	s_or_b32 exec_lo, exec_lo, s9
	v_or_b32_e32 v25, 0xb00, v0
	s_delay_alu instid0(VALU_DEP_1) | instskip(NEXT) | instid1(VALU_DEP_1)
	v_cmp_gt_u32_e64 s9, s33, v25
                                        ; implicit-def: $vgpr25_vgpr26
	s_and_saveexec_b32 s10, s9
	s_cbranch_execz .LBB4_31
; %bb.30:
	global_load_b64 v[25:26], v[1:2], off offset:22528
.LBB4_31:
	s_or_b32 exec_lo, exec_lo, s10
	v_or_b32_e32 v27, 0xc00, v0
	s_delay_alu instid0(VALU_DEP_1) | instskip(NEXT) | instid1(VALU_DEP_1)
	v_cmp_gt_u32_e64 s10, s33, v27
                                        ; implicit-def: $vgpr27_vgpr28
	s_and_saveexec_b32 s11, s10
	s_cbranch_execz .LBB4_33
; %bb.32:
	global_load_b64 v[27:28], v[1:2], off offset:24576
.LBB4_33:
	s_or_b32 exec_lo, exec_lo, s11
	v_or_b32_e32 v29, 0xd00, v0
	s_delay_alu instid0(VALU_DEP_1) | instskip(NEXT) | instid1(VALU_DEP_1)
	v_cmp_gt_u32_e64 s11, s33, v29
                                        ; implicit-def: $vgpr29_vgpr30
	s_and_saveexec_b32 s12, s11
	s_cbranch_execz .LBB4_35
; %bb.34:
	global_load_b64 v[29:30], v[1:2], off offset:26624
.LBB4_35:
	s_or_b32 exec_lo, exec_lo, s12
	v_or_b32_e32 v31, 0xe00, v0
	s_delay_alu instid0(VALU_DEP_1) | instskip(NEXT) | instid1(VALU_DEP_1)
	v_cmp_gt_u32_e64 s12, s33, v31
                                        ; implicit-def: $vgpr31_vgpr32
	s_and_saveexec_b32 s13, s12
	s_cbranch_execz .LBB4_37
; %bb.36:
	global_load_b64 v[31:32], v[1:2], off offset:28672
.LBB4_37:
	s_or_b32 exec_lo, exec_lo, s13
	v_or_b32_e32 v33, 0xf00, v0
	s_delay_alu instid0(VALU_DEP_1) | instskip(NEXT) | instid1(VALU_DEP_1)
	v_cmp_gt_u32_e64 s13, s33, v33
                                        ; implicit-def: $vgpr33_vgpr34
	s_and_saveexec_b32 s14, s13
	s_cbranch_execz .LBB4_39
; %bb.38:
	global_load_b64 v[33:34], v[1:2], off offset:30720
.LBB4_39:
	s_or_b32 exec_lo, exec_lo, s14
	v_or_b32_e32 v35, 0x1000, v0
	s_delay_alu instid0(VALU_DEP_1) | instskip(NEXT) | instid1(VALU_DEP_1)
	v_cmp_gt_u32_e64 s14, s33, v35
                                        ; implicit-def: $vgpr35_vgpr36
	s_and_saveexec_b32 s15, s14
	s_cbranch_execz .LBB4_41
; %bb.40:
	global_load_b64 v[35:36], v[1:2], off offset:32768
.LBB4_41:
	s_or_b32 exec_lo, exec_lo, s15
	v_or_b32_e32 v37, 0x1100, v0
	s_delay_alu instid0(VALU_DEP_1) | instskip(NEXT) | instid1(VALU_DEP_1)
	v_cmp_gt_u32_e64 s15, s33, v37
                                        ; implicit-def: $vgpr37_vgpr38
	s_and_saveexec_b32 s16, s15
	s_cbranch_execz .LBB4_43
; %bb.42:
	global_load_b64 v[37:38], v[1:2], off offset:34816
.LBB4_43:
	s_or_b32 exec_lo, exec_lo, s16
	v_or_b32_e32 v39, 0x1200, v0
	s_delay_alu instid0(VALU_DEP_1) | instskip(NEXT) | instid1(VALU_DEP_1)
	v_cmp_gt_u32_e64 s16, s33, v39
                                        ; implicit-def: $vgpr39_vgpr40
	s_and_saveexec_b32 s17, s16
	s_cbranch_execz .LBB4_45
; %bb.44:
	global_load_b64 v[39:40], v[1:2], off offset:36864
.LBB4_45:
	s_or_b32 exec_lo, exec_lo, s17
	v_or_b32_e32 v41, 0x1300, v0
	s_delay_alu instid0(VALU_DEP_1) | instskip(NEXT) | instid1(VALU_DEP_1)
	v_cmp_gt_u32_e64 s17, s33, v41
                                        ; implicit-def: $vgpr41_vgpr42
	s_and_saveexec_b32 s18, s17
	s_cbranch_execz .LBB4_47
; %bb.46:
	global_load_b64 v[41:42], v[1:2], off offset:38912
.LBB4_47:
	s_or_b32 exec_lo, exec_lo, s18
	v_or_b32_e32 v43, 0x1400, v0
	s_delay_alu instid0(VALU_DEP_1) | instskip(NEXT) | instid1(VALU_DEP_1)
	v_cmp_gt_u32_e64 s18, s33, v43
                                        ; implicit-def: $vgpr43_vgpr44
	s_and_saveexec_b32 s19, s18
	s_cbranch_execz .LBB4_49
; %bb.48:
	global_load_b64 v[43:44], v[1:2], off offset:40960
.LBB4_49:
	s_or_b32 exec_lo, exec_lo, s19
	v_or_b32_e32 v45, 0x1500, v0
	s_delay_alu instid0(VALU_DEP_1) | instskip(NEXT) | instid1(VALU_DEP_1)
	v_cmp_gt_u32_e64 s19, s33, v45
                                        ; implicit-def: $vgpr45_vgpr46
	s_and_saveexec_b32 s20, s19
	s_cbranch_execz .LBB4_51
; %bb.50:
	global_load_b64 v[45:46], v[1:2], off offset:43008
.LBB4_51:
	s_or_b32 exec_lo, exec_lo, s20
	v_or_b32_e32 v47, 0x1600, v0
	s_delay_alu instid0(VALU_DEP_1) | instskip(NEXT) | instid1(VALU_DEP_1)
	v_cmp_gt_u32_e64 s20, s33, v47
                                        ; implicit-def: $vgpr47_vgpr48
	s_and_saveexec_b32 s21, s20
	s_cbranch_execz .LBB4_53
; %bb.52:
	global_load_b64 v[47:48], v[1:2], off offset:45056
.LBB4_53:
	s_or_b32 exec_lo, exec_lo, s21
	v_or_b32_e32 v49, 0x1700, v0
	s_delay_alu instid0(VALU_DEP_1) | instskip(NEXT) | instid1(VALU_DEP_1)
	v_cmp_gt_u32_e64 s21, s33, v49
                                        ; implicit-def: $vgpr49_vgpr50
	s_and_saveexec_b32 s22, s21
	s_cbranch_execz .LBB4_55
; %bb.54:
	global_load_b64 v[49:50], v[1:2], off offset:47104
.LBB4_55:
	s_or_b32 exec_lo, exec_lo, s22
	v_or_b32_e32 v51, 0x1800, v0
	s_delay_alu instid0(VALU_DEP_1) | instskip(NEXT) | instid1(VALU_DEP_1)
	v_cmp_gt_u32_e64 s22, s33, v51
                                        ; implicit-def: $vgpr51_vgpr52
	s_and_saveexec_b32 s23, s22
	s_cbranch_execz .LBB4_57
; %bb.56:
	global_load_b64 v[51:52], v[1:2], off offset:49152
.LBB4_57:
	s_or_b32 exec_lo, exec_lo, s23
	v_or_b32_e32 v53, 0x1900, v0
	s_delay_alu instid0(VALU_DEP_1) | instskip(NEXT) | instid1(VALU_DEP_1)
	v_cmp_gt_u32_e64 s23, s33, v53
                                        ; implicit-def: $vgpr53_vgpr54
	s_and_saveexec_b32 s24, s23
	s_cbranch_execz .LBB4_59
; %bb.58:
	global_load_b64 v[53:54], v[1:2], off offset:51200
.LBB4_59:
	s_or_b32 exec_lo, exec_lo, s24
	v_or_b32_e32 v55, 0x1a00, v0
	s_delay_alu instid0(VALU_DEP_1) | instskip(NEXT) | instid1(VALU_DEP_1)
	v_cmp_gt_u32_e64 s24, s33, v55
                                        ; implicit-def: $vgpr55_vgpr56
	s_and_saveexec_b32 s25, s24
	s_cbranch_execz .LBB4_61
; %bb.60:
	global_load_b64 v[55:56], v[1:2], off offset:53248
.LBB4_61:
	s_or_b32 exec_lo, exec_lo, s25
	v_or_b32_e32 v57, 0x1b00, v0
	s_delay_alu instid0(VALU_DEP_1) | instskip(NEXT) | instid1(VALU_DEP_1)
	v_cmp_gt_u32_e64 s25, s33, v57
                                        ; implicit-def: $vgpr57_vgpr58
	s_and_saveexec_b32 s26, s25
	s_cbranch_execz .LBB4_63
; %bb.62:
	global_load_b64 v[57:58], v[1:2], off offset:55296
.LBB4_63:
	s_or_b32 exec_lo, exec_lo, s26
	v_or_b32_e32 v59, 0x1c00, v0
	s_delay_alu instid0(VALU_DEP_1) | instskip(NEXT) | instid1(VALU_DEP_1)
	v_cmp_gt_u32_e64 s26, s33, v59
                                        ; implicit-def: $vgpr59_vgpr60
	s_and_saveexec_b32 s27, s26
	s_cbranch_execz .LBB4_65
; %bb.64:
	global_load_b64 v[59:60], v[1:2], off offset:57344
.LBB4_65:
	s_or_b32 exec_lo, exec_lo, s27
	v_or_b32_e32 v61, 0x1d00, v0
	s_delay_alu instid0(VALU_DEP_1) | instskip(NEXT) | instid1(VALU_DEP_1)
	v_cmp_gt_u32_e64 s27, s33, v61
                                        ; implicit-def: $vgpr61_vgpr62
	s_and_saveexec_b32 s28, s27
	s_cbranch_execz .LBB4_67
; %bb.66:
	global_load_b64 v[61:62], v[1:2], off offset:59392
.LBB4_67:
	s_or_b32 exec_lo, exec_lo, s28
	v_or_b32_e32 v63, 0x1e00, v0
	s_delay_alu instid0(VALU_DEP_1) | instskip(NEXT) | instid1(VALU_DEP_1)
	v_cmp_gt_u32_e64 s29, s33, v63
                                        ; implicit-def: $vgpr63_vgpr64
	s_and_saveexec_b32 s28, s29
	s_cbranch_execz .LBB4_69
; %bb.68:
	global_load_b64 v[63:64], v[1:2], off offset:61440
.LBB4_69:
	s_or_b32 exec_lo, exec_lo, s28
	v_or_b32_e32 v65, 0x1f00, v0
	s_delay_alu instid0(VALU_DEP_1) | instskip(NEXT) | instid1(VALU_DEP_1)
	v_cmp_gt_u32_e64 s28, s33, v65
                                        ; implicit-def: $vgpr65_vgpr66
	s_and_saveexec_b32 s34, s28
	s_cbranch_execz .LBB4_71
; %bb.70:
	global_load_b64 v[65:66], v[1:2], off offset:63488
.LBB4_71:
	s_or_b32 exec_lo, exec_lo, s34
	s_wait_loadcnt 0x0
	v_add_f64_e32 v[1:2], v[3:4], v[5:6]
	v_add_nc_u32_e32 v6, 1, v67
	s_delay_alu instid0(VALU_DEP_2) | instskip(SKIP_1) | instid1(VALU_DEP_2)
	v_dual_cndmask_b32 v2, v4, v2 :: v_dual_cndmask_b32 v1, v3, v1
	v_cmp_ne_u32_e32 vcc_lo, 31, v67
	v_add_f64_e32 v[3:4], v[1:2], v[7:8]
	s_wait_alu 0xfffd
	v_add_co_ci_u32_e32 v5, vcc_lo, 0, v67, vcc_lo
	s_delay_alu instid0(VALU_DEP_1) | instskip(NEXT) | instid1(VALU_DEP_3)
	v_lshlrev_b32_e32 v5, 2, v5
	v_cndmask_b32_e64 v2, v2, v4, s0
	s_delay_alu instid0(VALU_DEP_4) | instskip(SKIP_1) | instid1(VALU_DEP_1)
	v_cndmask_b32_e64 v1, v1, v3, s0
	s_min_u32 s0, s33, 0x100
	v_add_f64_e32 v[3:4], v[1:2], v[9:10]
	s_delay_alu instid0(VALU_DEP_1) | instskip(NEXT) | instid1(VALU_DEP_2)
	v_cndmask_b32_e64 v2, v2, v4, s1
	v_cndmask_b32_e64 v1, v1, v3, s1
	s_mov_b32 s1, exec_lo
	s_delay_alu instid0(VALU_DEP_1) | instskip(NEXT) | instid1(VALU_DEP_1)
	v_add_f64_e32 v[3:4], v[1:2], v[11:12]
	v_cndmask_b32_e64 v2, v2, v4, s2
	s_delay_alu instid0(VALU_DEP_2) | instskip(NEXT) | instid1(VALU_DEP_1)
	v_cndmask_b32_e64 v1, v1, v3, s2
	v_add_f64_e32 v[3:4], v[1:2], v[13:14]
	s_delay_alu instid0(VALU_DEP_1) | instskip(NEXT) | instid1(VALU_DEP_2)
	v_cndmask_b32_e64 v2, v2, v4, s3
	v_cndmask_b32_e64 v1, v1, v3, s3
	s_delay_alu instid0(VALU_DEP_1) | instskip(NEXT) | instid1(VALU_DEP_1)
	v_add_f64_e32 v[3:4], v[1:2], v[15:16]
	v_cndmask_b32_e64 v2, v2, v4, s4
	s_delay_alu instid0(VALU_DEP_2) | instskip(NEXT) | instid1(VALU_DEP_1)
	v_cndmask_b32_e64 v1, v1, v3, s4
	v_add_f64_e32 v[3:4], v[1:2], v[17:18]
	s_delay_alu instid0(VALU_DEP_1) | instskip(NEXT) | instid1(VALU_DEP_2)
	v_cndmask_b32_e64 v2, v2, v4, s5
	v_cndmask_b32_e64 v1, v1, v3, s5
	;; [unrolled: 9-line block ×14, first 2 shown]
	ds_bpermute_b32 v1, v5, v3
	ds_bpermute_b32 v2, v5, v4
	v_and_b32_e32 v5, 0xe0, v0
	s_wait_alu 0xfffe
	s_delay_alu instid0(VALU_DEP_1) | instskip(NEXT) | instid1(VALU_DEP_1)
	v_sub_nc_u32_e64 v5, s0, v5 clamp
	v_cmpx_lt_u32_e64 v6, v5
	s_cbranch_execz .LBB4_73
; %bb.72:
	s_wait_dscnt 0x0
	v_add_f64_e32 v[3:4], v[3:4], v[1:2]
.LBB4_73:
	s_or_b32 exec_lo, exec_lo, s1
	v_cmp_gt_u32_e32 vcc_lo, 30, v67
	v_add_nc_u32_e32 v6, 2, v67
	s_mov_b32 s1, exec_lo
	s_wait_dscnt 0x1
	s_wait_alu 0xfffd
	v_cndmask_b32_e64 v1, 0, 1, vcc_lo
	s_delay_alu instid0(VALU_DEP_1) | instskip(SKIP_1) | instid1(VALU_DEP_1)
	v_lshlrev_b32_e32 v1, 1, v1
	s_wait_dscnt 0x0
	v_add_lshl_u32 v2, v1, v67, 2
	ds_bpermute_b32 v1, v2, v3
	ds_bpermute_b32 v2, v2, v4
	v_cmpx_lt_u32_e64 v6, v5
	s_cbranch_execz .LBB4_75
; %bb.74:
	s_wait_dscnt 0x0
	v_add_f64_e32 v[3:4], v[3:4], v[1:2]
.LBB4_75:
	s_wait_alu 0xfffe
	s_or_b32 exec_lo, exec_lo, s1
	v_cmp_gt_u32_e32 vcc_lo, 28, v67
	v_add_nc_u32_e32 v6, 4, v67
	s_mov_b32 s1, exec_lo
	s_wait_dscnt 0x1
	s_wait_alu 0xfffd
	v_cndmask_b32_e64 v1, 0, 1, vcc_lo
	s_delay_alu instid0(VALU_DEP_1) | instskip(SKIP_1) | instid1(VALU_DEP_1)
	v_lshlrev_b32_e32 v1, 2, v1
	s_wait_dscnt 0x0
	v_add_lshl_u32 v2, v1, v67, 2
	ds_bpermute_b32 v1, v2, v3
	ds_bpermute_b32 v2, v2, v4
	v_cmpx_lt_u32_e64 v6, v5
	s_cbranch_execz .LBB4_77
; %bb.76:
	s_wait_dscnt 0x0
	v_add_f64_e32 v[3:4], v[3:4], v[1:2]
.LBB4_77:
	s_wait_alu 0xfffe
	;; [unrolled: 20-line block ×4, first 2 shown]
	s_or_b32 exec_lo, exec_lo, s1
	s_delay_alu instid0(SALU_CYCLE_1)
	s_mov_b32 s1, exec_lo
	v_cmpx_eq_u32_e32 0, v67
	s_cbranch_execz .LBB4_83
; %bb.82:
	s_wait_dscnt 0x1
	v_lshrrev_b32_e32 v1, 2, v0
	s_delay_alu instid0(VALU_DEP_1)
	v_and_b32_e32 v1, 56, v1
	ds_store_b64 v1, v[3:4] offset:64
.LBB4_83:
	s_wait_alu 0xfffe
	s_or_b32 exec_lo, exec_lo, s1
	s_delay_alu instid0(SALU_CYCLE_1)
	s_mov_b32 s1, exec_lo
	global_wb scope:SCOPE_SE
	s_wait_dscnt 0x0
	s_barrier_signal -1
	s_barrier_wait -1
	global_inv scope:SCOPE_SE
	v_cmpx_gt_u32_e32 8, v0
	s_cbranch_execz .LBB4_91
; %bb.84:
	v_lshlrev_b32_e32 v1, 3, v67
	v_and_b32_e32 v5, 7, v67
	s_add_co_i32 s0, s0, 31
	s_mov_b32 s2, exec_lo
	s_wait_alu 0xfffe
	s_lshr_b32 s0, s0, 5
	ds_load_b64 v[3:4], v1 offset:64
	v_cmp_ne_u32_e32 vcc_lo, 7, v5
	v_add_nc_u32_e32 v6, 1, v5
	s_wait_alu 0xfffd
	v_add_co_ci_u32_e32 v1, vcc_lo, 0, v67, vcc_lo
	s_delay_alu instid0(VALU_DEP_1)
	v_lshlrev_b32_e32 v2, 2, v1
	s_wait_dscnt 0x0
	ds_bpermute_b32 v1, v2, v3
	ds_bpermute_b32 v2, v2, v4
	s_wait_alu 0xfffe
	v_cmpx_gt_u32_e64 s0, v6
	s_cbranch_execz .LBB4_86
; %bb.85:
	s_wait_dscnt 0x0
	v_add_f64_e32 v[3:4], v[3:4], v[1:2]
.LBB4_86:
	s_or_b32 exec_lo, exec_lo, s2
	v_cmp_gt_u32_e32 vcc_lo, 6, v5
	v_add_nc_u32_e32 v6, 2, v5
	s_mov_b32 s2, exec_lo
	s_wait_dscnt 0x1
	s_wait_alu 0xfffd
	v_cndmask_b32_e64 v1, 0, 1, vcc_lo
	s_delay_alu instid0(VALU_DEP_1) | instskip(SKIP_1) | instid1(VALU_DEP_1)
	v_lshlrev_b32_e32 v1, 1, v1
	s_wait_dscnt 0x0
	v_add_lshl_u32 v2, v1, v67, 2
	ds_bpermute_b32 v1, v2, v3
	ds_bpermute_b32 v2, v2, v4
	v_cmpx_gt_u32_e64 s0, v6
	s_cbranch_execz .LBB4_88
; %bb.87:
	s_wait_dscnt 0x0
	v_add_f64_e32 v[3:4], v[3:4], v[1:2]
.LBB4_88:
	s_wait_alu 0xfffe
	s_or_b32 exec_lo, exec_lo, s2
	v_cmp_gt_u32_e32 vcc_lo, 4, v5
	v_add_nc_u32_e32 v5, 4, v5
	s_wait_dscnt 0x1
	s_wait_alu 0xfffd
	v_cndmask_b32_e64 v1, 0, 1, vcc_lo
	s_delay_alu instid0(VALU_DEP_2) | instskip(NEXT) | instid1(VALU_DEP_2)
	v_cmp_gt_u32_e32 vcc_lo, s0, v5
	v_lshlrev_b32_e32 v1, 2, v1
	s_wait_dscnt 0x0
	s_delay_alu instid0(VALU_DEP_1)
	v_add_lshl_u32 v2, v1, v67, 2
	ds_bpermute_b32 v1, v2, v3
	ds_bpermute_b32 v2, v2, v4
	s_and_saveexec_b32 s0, vcc_lo
	s_cbranch_execz .LBB4_90
; %bb.89:
	s_wait_dscnt 0x0
	v_add_f64_e32 v[3:4], v[3:4], v[1:2]
.LBB4_90:
	s_wait_alu 0xfffe
	s_or_b32 exec_lo, exec_lo, s0
.LBB4_91:
	s_wait_alu 0xfffe
	s_or_b32 exec_lo, exec_lo, s1
.LBB4_92:
	s_delay_alu instid0(SALU_CYCLE_1)
	s_mov_b32 s0, exec_lo
	v_cmpx_eq_u32_e32 0, v0
	s_cbranch_execz .LBB4_94
; %bb.93:
	s_wait_dscnt 0x1
	s_delay_alu instid0(VALU_DEP_2)
	v_add_f64_e32 v[0:1], s[42:43], v[3:4]
	s_lshl_b64 s[0:1], s[30:31], 3
	s_cmp_eq_u64 s[38:39], 0
	s_wait_dscnt 0x0
	v_mov_b32_e32 v2, 0
	s_cselect_b32 s2, -1, 0
	s_wait_alu 0xfffe
	s_add_nc_u64 s[0:1], s[40:41], s[0:1]
	s_delay_alu instid0(VALU_DEP_2) | instskip(NEXT) | instid1(VALU_DEP_3)
	v_cndmask_b32_e64 v1, v1, s43, s2
	v_cndmask_b32_e64 v0, v0, s42, s2
	global_store_b64 v2, v[0:1], s[0:1]
.LBB4_94:
	s_nop 0
	s_sendmsg sendmsg(MSG_DEALLOC_VGPRS)
	s_endpgm
	.section	.rodata,"a",@progbits
	.p2align	6, 0x0
	.amdhsa_kernel _ZN7rocprim6detail19block_reduce_kernelILb1ELb1ELj2ENS0_21wrapped_reduce_configINS_14default_configEdEEdPdS5_dN6thrust4plusIdEEEEvT4_mT5_T6_T7_
		.amdhsa_group_segment_fixed_size 128
		.amdhsa_private_segment_fixed_size 0
		.amdhsa_kernarg_size 36
		.amdhsa_user_sgpr_count 2
		.amdhsa_user_sgpr_dispatch_ptr 0
		.amdhsa_user_sgpr_queue_ptr 0
		.amdhsa_user_sgpr_kernarg_segment_ptr 1
		.amdhsa_user_sgpr_dispatch_id 0
		.amdhsa_user_sgpr_private_segment_size 0
		.amdhsa_wavefront_size32 1
		.amdhsa_uses_dynamic_stack 0
		.amdhsa_enable_private_segment 0
		.amdhsa_system_sgpr_workgroup_id_x 1
		.amdhsa_system_sgpr_workgroup_id_y 0
		.amdhsa_system_sgpr_workgroup_id_z 0
		.amdhsa_system_sgpr_workgroup_info 0
		.amdhsa_system_vgpr_workitem_id 0
		.amdhsa_next_free_vgpr 68
		.amdhsa_next_free_sgpr 44
		.amdhsa_reserve_vcc 1
		.amdhsa_float_round_mode_32 0
		.amdhsa_float_round_mode_16_64 0
		.amdhsa_float_denorm_mode_32 3
		.amdhsa_float_denorm_mode_16_64 3
		.amdhsa_fp16_overflow 0
		.amdhsa_workgroup_processor_mode 1
		.amdhsa_memory_ordered 1
		.amdhsa_forward_progress 0
		.amdhsa_round_robin_scheduling 0
		.amdhsa_exception_fp_ieee_invalid_op 0
		.amdhsa_exception_fp_denorm_src 0
		.amdhsa_exception_fp_ieee_div_zero 0
		.amdhsa_exception_fp_ieee_overflow 0
		.amdhsa_exception_fp_ieee_underflow 0
		.amdhsa_exception_fp_ieee_inexact 0
		.amdhsa_exception_int_div_zero 0
	.end_amdhsa_kernel
	.section	.text._ZN7rocprim6detail19block_reduce_kernelILb1ELb1ELj2ENS0_21wrapped_reduce_configINS_14default_configEdEEdPdS5_dN6thrust4plusIdEEEEvT4_mT5_T6_T7_,"axG",@progbits,_ZN7rocprim6detail19block_reduce_kernelILb1ELb1ELj2ENS0_21wrapped_reduce_configINS_14default_configEdEEdPdS5_dN6thrust4plusIdEEEEvT4_mT5_T6_T7_,comdat
.Lfunc_end4:
	.size	_ZN7rocprim6detail19block_reduce_kernelILb1ELb1ELj2ENS0_21wrapped_reduce_configINS_14default_configEdEEdPdS5_dN6thrust4plusIdEEEEvT4_mT5_T6_T7_, .Lfunc_end4-_ZN7rocprim6detail19block_reduce_kernelILb1ELb1ELj2ENS0_21wrapped_reduce_configINS_14default_configEdEEdPdS5_dN6thrust4plusIdEEEEvT4_mT5_T6_T7_
                                        ; -- End function
	.section	.AMDGPU.csdata,"",@progbits
; Kernel info:
; codeLenInByte = 4340
; NumSgprs: 46
; NumVgprs: 68
; ScratchSize: 0
; MemoryBound: 0
; FloatMode: 240
; IeeeMode: 1
; LDSByteSize: 128 bytes/workgroup (compile time only)
; SGPRBlocks: 5
; VGPRBlocks: 8
; NumSGPRsForWavesPerEU: 46
; NumVGPRsForWavesPerEU: 68
; Occupancy: 16
; WaveLimiterHint : 1
; COMPUTE_PGM_RSRC2:SCRATCH_EN: 0
; COMPUTE_PGM_RSRC2:USER_SGPR: 2
; COMPUTE_PGM_RSRC2:TRAP_HANDLER: 0
; COMPUTE_PGM_RSRC2:TGID_X_EN: 1
; COMPUTE_PGM_RSRC2:TGID_Y_EN: 0
; COMPUTE_PGM_RSRC2:TGID_Z_EN: 0
; COMPUTE_PGM_RSRC2:TIDIG_COMP_CNT: 0
	.section	.text._ZN7rocprim6detail19block_reduce_kernelILb1ELb1ELj4ENS0_21wrapped_reduce_configINS_14default_configEdEEdPdS5_dN6thrust4plusIdEEEEvT4_mT5_T6_T7_,"axG",@progbits,_ZN7rocprim6detail19block_reduce_kernelILb1ELb1ELj4ENS0_21wrapped_reduce_configINS_14default_configEdEEdPdS5_dN6thrust4plusIdEEEEvT4_mT5_T6_T7_,comdat
	.protected	_ZN7rocprim6detail19block_reduce_kernelILb1ELb1ELj4ENS0_21wrapped_reduce_configINS_14default_configEdEEdPdS5_dN6thrust4plusIdEEEEvT4_mT5_T6_T7_ ; -- Begin function _ZN7rocprim6detail19block_reduce_kernelILb1ELb1ELj4ENS0_21wrapped_reduce_configINS_14default_configEdEEdPdS5_dN6thrust4plusIdEEEEvT4_mT5_T6_T7_
	.globl	_ZN7rocprim6detail19block_reduce_kernelILb1ELb1ELj4ENS0_21wrapped_reduce_configINS_14default_configEdEEdPdS5_dN6thrust4plusIdEEEEvT4_mT5_T6_T7_
	.p2align	8
	.type	_ZN7rocprim6detail19block_reduce_kernelILb1ELb1ELj4ENS0_21wrapped_reduce_configINS_14default_configEdEEdPdS5_dN6thrust4plusIdEEEEvT4_mT5_T6_T7_,@function
_ZN7rocprim6detail19block_reduce_kernelILb1ELb1ELj4ENS0_21wrapped_reduce_configINS_14default_configEdEEdPdS5_dN6thrust4plusIdEEEEvT4_mT5_T6_T7_: ; @_ZN7rocprim6detail19block_reduce_kernelILb1ELb1ELj4ENS0_21wrapped_reduce_configINS_14default_configEdEEdPdS5_dN6thrust4plusIdEEEEvT4_mT5_T6_T7_
; %bb.0:
	s_load_b256 s[64:71], s[0:1], 0x0
	s_mov_b32 s1, 0
	s_lshl_b32 s0, ttmp9, 14
	v_lshlrev_b32_e32 v1, 3, v0
	s_lshl_b64 s[2:3], s[0:1], 3
	s_mov_b32 s73, s1
	v_mbcnt_lo_u32_b32 v131, -1, 0
	s_mov_b32 s72, ttmp9
	s_wait_kmcnt 0x0
	s_add_nc_u64 s[2:3], s[64:65], s[2:3]
	s_lshr_b64 s[4:5], s[66:67], 14
	v_add_co_u32 v1, s1, s2, v1
	s_delay_alu instid0(VALU_DEP_1)
	v_add_co_ci_u32_e64 v2, null, s3, 0, s1
	s_cmp_lg_u64 s[4:5], s[72:73]
	s_cbranch_scc0 .LBB5_6
; %bb.1:
	s_clause 0x9
	global_load_b64 v[3:4], v[1:2], off
	global_load_b64 v[5:6], v[1:2], off offset:2048
	global_load_b64 v[7:8], v[1:2], off offset:4096
	;; [unrolled: 1-line block ×9, first 2 shown]
	s_mov_b32 s1, exec_lo
	s_wait_loadcnt 0x8
	v_add_f64_e32 v[3:4], v[3:4], v[5:6]
	global_load_b64 v[5:6], v[1:2], off offset:20480
	s_wait_loadcnt 0x8
	v_add_f64_e32 v[3:4], v[3:4], v[7:8]
	global_load_b64 v[7:8], v[1:2], off offset:22528
	;; [unrolled: 3-line block ×54, first 2 shown]
	s_wait_loadcnt 0x8
	v_add_f64_e32 v[3:4], v[3:4], v[5:6]
	s_wait_loadcnt 0x7
	s_delay_alu instid0(VALU_DEP_1) | instskip(SKIP_1) | instid1(VALU_DEP_1)
	v_add_f64_e32 v[3:4], v[3:4], v[7:8]
	s_wait_loadcnt 0x6
	v_add_f64_e32 v[3:4], v[3:4], v[9:10]
	s_wait_loadcnt 0x5
	s_delay_alu instid0(VALU_DEP_1) | instskip(SKIP_1) | instid1(VALU_DEP_1)
	v_add_f64_e32 v[3:4], v[3:4], v[11:12]
	;; [unrolled: 5-line block ×4, first 2 shown]
	s_wait_loadcnt 0x0
	v_add_f64_e32 v[3:4], v[3:4], v[21:22]
	s_delay_alu instid0(VALU_DEP_1) | instskip(NEXT) | instid1(VALU_DEP_2)
	v_mov_b32_dpp v5, v3 quad_perm:[1,0,3,2] row_mask:0xf bank_mask:0xf
	v_mov_b32_dpp v6, v4 quad_perm:[1,0,3,2] row_mask:0xf bank_mask:0xf
	s_delay_alu instid0(VALU_DEP_1) | instskip(NEXT) | instid1(VALU_DEP_1)
	v_add_f64_e32 v[3:4], v[3:4], v[5:6]
	v_mov_b32_dpp v5, v3 quad_perm:[2,3,0,1] row_mask:0xf bank_mask:0xf
	s_delay_alu instid0(VALU_DEP_2) | instskip(NEXT) | instid1(VALU_DEP_1)
	v_mov_b32_dpp v6, v4 quad_perm:[2,3,0,1] row_mask:0xf bank_mask:0xf
	v_add_f64_e32 v[3:4], v[3:4], v[5:6]
	s_delay_alu instid0(VALU_DEP_1) | instskip(NEXT) | instid1(VALU_DEP_2)
	v_mov_b32_dpp v5, v3 row_ror:4 row_mask:0xf bank_mask:0xf
	v_mov_b32_dpp v6, v4 row_ror:4 row_mask:0xf bank_mask:0xf
	s_delay_alu instid0(VALU_DEP_1) | instskip(NEXT) | instid1(VALU_DEP_1)
	v_add_f64_e32 v[3:4], v[3:4], v[5:6]
	v_mov_b32_dpp v5, v3 row_ror:8 row_mask:0xf bank_mask:0xf
	s_delay_alu instid0(VALU_DEP_2) | instskip(NEXT) | instid1(VALU_DEP_1)
	v_mov_b32_dpp v6, v4 row_ror:8 row_mask:0xf bank_mask:0xf
	v_add_f64_e32 v[3:4], v[3:4], v[5:6]
	ds_swizzle_b32 v5, v3 offset:swizzle(BROADCAST,32,15)
	ds_swizzle_b32 v6, v4 offset:swizzle(BROADCAST,32,15)
	s_wait_dscnt 0x0
	v_add_f64_e32 v[3:4], v[3:4], v[5:6]
	v_mov_b32_e32 v5, 0
	ds_bpermute_b32 v3, v5, v3 offset:124
	ds_bpermute_b32 v4, v5, v4 offset:124
	v_cmpx_eq_u32_e32 0, v131
	s_cbranch_execz .LBB5_3
; %bb.2:
	v_lshrrev_b32_e32 v5, 2, v0
	s_delay_alu instid0(VALU_DEP_1)
	v_and_b32_e32 v5, 56, v5
	s_wait_dscnt 0x0
	ds_store_b64 v5, v[3:4]
.LBB5_3:
	s_wait_alu 0xfffe
	s_or_b32 exec_lo, exec_lo, s1
	s_delay_alu instid0(SALU_CYCLE_1)
	s_mov_b32 s1, exec_lo
	global_wb scope:SCOPE_SE
	s_wait_dscnt 0x0
	s_barrier_signal -1
	s_barrier_wait -1
	global_inv scope:SCOPE_SE
	v_cmpx_gt_u32_e32 32, v0
	s_cbranch_execz .LBB5_5
; %bb.4:
	v_and_b32_e32 v7, 7, v131
	s_delay_alu instid0(VALU_DEP_1) | instskip(SKIP_4) | instid1(VALU_DEP_2)
	v_lshlrev_b32_e32 v3, 3, v7
	v_cmp_ne_u32_e32 vcc_lo, 7, v7
	ds_load_b64 v[3:4], v3
	v_add_co_ci_u32_e32 v5, vcc_lo, 0, v131, vcc_lo
	v_cmp_gt_u32_e32 vcc_lo, 6, v7
	v_lshlrev_b32_e32 v6, 2, v5
	s_wait_dscnt 0x0
	ds_bpermute_b32 v5, v6, v3
	ds_bpermute_b32 v6, v6, v4
	s_wait_dscnt 0x0
	v_add_f64_e32 v[3:4], v[3:4], v[5:6]
	s_wait_alu 0xfffd
	v_cndmask_b32_e64 v5, 0, 1, vcc_lo
	v_cmp_gt_u32_e32 vcc_lo, 4, v7
	s_delay_alu instid0(VALU_DEP_2) | instskip(NEXT) | instid1(VALU_DEP_1)
	v_lshlrev_b32_e32 v5, 1, v5
	v_add_lshl_u32 v6, v5, v131, 2
	ds_bpermute_b32 v5, v6, v3
	ds_bpermute_b32 v6, v6, v4
	s_wait_dscnt 0x0
	v_add_f64_e32 v[3:4], v[3:4], v[5:6]
	s_wait_alu 0xfffd
	v_cndmask_b32_e64 v5, 0, 1, vcc_lo
	s_delay_alu instid0(VALU_DEP_1) | instskip(NEXT) | instid1(VALU_DEP_1)
	v_lshlrev_b32_e32 v5, 2, v5
	v_add_lshl_u32 v6, v5, v131, 2
	ds_bpermute_b32 v5, v6, v3
	ds_bpermute_b32 v6, v6, v4
	s_wait_dscnt 0x0
	v_add_f64_e32 v[3:4], v[3:4], v[5:6]
.LBB5_5:
	s_wait_alu 0xfffe
	s_or_b32 exec_lo, exec_lo, s1
	s_branch .LBB5_156
.LBB5_6:
                                        ; implicit-def: $vgpr3_vgpr4
	s_cbranch_execz .LBB5_156
; %bb.7:
	s_sub_co_i32 s63, s66, s0
	s_mov_b32 s0, exec_lo
                                        ; implicit-def: $vgpr3_vgpr4
	v_cmpx_gt_u32_e64 s63, v0
	s_cbranch_execz .LBB5_9
; %bb.8:
	global_load_b64 v[3:4], v[1:2], off
.LBB5_9:
	s_wait_alu 0xfffe
	s_or_b32 exec_lo, exec_lo, s0
	v_or_b32_e32 v5, 0x100, v0
	s_delay_alu instid0(VALU_DEP_1)
	v_cmp_gt_u32_e32 vcc_lo, s63, v5
                                        ; implicit-def: $vgpr5_vgpr6
	s_and_saveexec_b32 s0, vcc_lo
	s_cbranch_execz .LBB5_11
; %bb.10:
	global_load_b64 v[5:6], v[1:2], off offset:2048
.LBB5_11:
	s_wait_alu 0xfffe
	s_or_b32 exec_lo, exec_lo, s0
	v_or_b32_e32 v7, 0x200, v0
	s_delay_alu instid0(VALU_DEP_1) | instskip(NEXT) | instid1(VALU_DEP_1)
	v_cmp_gt_u32_e64 s0, s63, v7
                                        ; implicit-def: $vgpr7_vgpr8
	s_and_saveexec_b32 s1, s0
	s_cbranch_execz .LBB5_13
; %bb.12:
	global_load_b64 v[7:8], v[1:2], off offset:4096
.LBB5_13:
	s_wait_alu 0xfffe
	s_or_b32 exec_lo, exec_lo, s1
	v_or_b32_e32 v9, 0x300, v0
	s_delay_alu instid0(VALU_DEP_1) | instskip(NEXT) | instid1(VALU_DEP_1)
	v_cmp_gt_u32_e64 s1, s63, v9
                                        ; implicit-def: $vgpr9_vgpr10
	s_and_saveexec_b32 s2, s1
	s_cbranch_execz .LBB5_15
; %bb.14:
	global_load_b64 v[9:10], v[1:2], off offset:6144
.LBB5_15:
	s_wait_alu 0xfffe
	s_or_b32 exec_lo, exec_lo, s2
	v_or_b32_e32 v11, 0x400, v0
	s_delay_alu instid0(VALU_DEP_1) | instskip(NEXT) | instid1(VALU_DEP_1)
	v_cmp_gt_u32_e64 s2, s63, v11
                                        ; implicit-def: $vgpr11_vgpr12
	s_and_saveexec_b32 s3, s2
	s_cbranch_execz .LBB5_17
; %bb.16:
	global_load_b64 v[11:12], v[1:2], off offset:8192
.LBB5_17:
	s_wait_alu 0xfffe
	s_or_b32 exec_lo, exec_lo, s3
	v_or_b32_e32 v13, 0x500, v0
	s_delay_alu instid0(VALU_DEP_1) | instskip(NEXT) | instid1(VALU_DEP_1)
	v_cmp_gt_u32_e64 s3, s63, v13
                                        ; implicit-def: $vgpr13_vgpr14
	s_and_saveexec_b32 s4, s3
	s_cbranch_execz .LBB5_19
; %bb.18:
	global_load_b64 v[13:14], v[1:2], off offset:10240
.LBB5_19:
	s_or_b32 exec_lo, exec_lo, s4
	v_or_b32_e32 v15, 0x600, v0
	s_delay_alu instid0(VALU_DEP_1) | instskip(NEXT) | instid1(VALU_DEP_1)
	v_cmp_gt_u32_e64 s4, s63, v15
                                        ; implicit-def: $vgpr15_vgpr16
	s_and_saveexec_b32 s5, s4
	s_cbranch_execz .LBB5_21
; %bb.20:
	global_load_b64 v[15:16], v[1:2], off offset:12288
.LBB5_21:
	s_or_b32 exec_lo, exec_lo, s5
	v_or_b32_e32 v17, 0x700, v0
	s_delay_alu instid0(VALU_DEP_1) | instskip(NEXT) | instid1(VALU_DEP_1)
	v_cmp_gt_u32_e64 s5, s63, v17
                                        ; implicit-def: $vgpr17_vgpr18
	s_and_saveexec_b32 s6, s5
	s_cbranch_execz .LBB5_23
; %bb.22:
	global_load_b64 v[17:18], v[1:2], off offset:14336
.LBB5_23:
	s_or_b32 exec_lo, exec_lo, s6
	v_or_b32_e32 v19, 0x800, v0
	s_delay_alu instid0(VALU_DEP_1) | instskip(NEXT) | instid1(VALU_DEP_1)
	v_cmp_gt_u32_e64 s6, s63, v19
                                        ; implicit-def: $vgpr19_vgpr20
	s_and_saveexec_b32 s7, s6
	s_cbranch_execz .LBB5_25
; %bb.24:
	global_load_b64 v[19:20], v[1:2], off offset:16384
.LBB5_25:
	s_or_b32 exec_lo, exec_lo, s7
	v_or_b32_e32 v21, 0x900, v0
	s_delay_alu instid0(VALU_DEP_1) | instskip(NEXT) | instid1(VALU_DEP_1)
	v_cmp_gt_u32_e64 s7, s63, v21
                                        ; implicit-def: $vgpr21_vgpr22
	s_and_saveexec_b32 s8, s7
	s_cbranch_execz .LBB5_27
; %bb.26:
	global_load_b64 v[21:22], v[1:2], off offset:18432
.LBB5_27:
	s_or_b32 exec_lo, exec_lo, s8
	v_or_b32_e32 v23, 0xa00, v0
	s_delay_alu instid0(VALU_DEP_1) | instskip(NEXT) | instid1(VALU_DEP_1)
	v_cmp_gt_u32_e64 s8, s63, v23
                                        ; implicit-def: $vgpr23_vgpr24
	s_and_saveexec_b32 s9, s8
	s_cbranch_execz .LBB5_29
; %bb.28:
	global_load_b64 v[23:24], v[1:2], off offset:20480
.LBB5_29:
	s_or_b32 exec_lo, exec_lo, s9
	v_or_b32_e32 v25, 0xb00, v0
	s_delay_alu instid0(VALU_DEP_1) | instskip(NEXT) | instid1(VALU_DEP_1)
	v_cmp_gt_u32_e64 s9, s63, v25
                                        ; implicit-def: $vgpr25_vgpr26
	s_and_saveexec_b32 s10, s9
	s_cbranch_execz .LBB5_31
; %bb.30:
	global_load_b64 v[25:26], v[1:2], off offset:22528
.LBB5_31:
	s_or_b32 exec_lo, exec_lo, s10
	v_or_b32_e32 v27, 0xc00, v0
	s_delay_alu instid0(VALU_DEP_1) | instskip(NEXT) | instid1(VALU_DEP_1)
	v_cmp_gt_u32_e64 s10, s63, v27
                                        ; implicit-def: $vgpr27_vgpr28
	s_and_saveexec_b32 s11, s10
	s_cbranch_execz .LBB5_33
; %bb.32:
	global_load_b64 v[27:28], v[1:2], off offset:24576
.LBB5_33:
	s_or_b32 exec_lo, exec_lo, s11
	v_or_b32_e32 v29, 0xd00, v0
	s_delay_alu instid0(VALU_DEP_1) | instskip(NEXT) | instid1(VALU_DEP_1)
	v_cmp_gt_u32_e64 s11, s63, v29
                                        ; implicit-def: $vgpr29_vgpr30
	s_and_saveexec_b32 s12, s11
	s_cbranch_execz .LBB5_35
; %bb.34:
	global_load_b64 v[29:30], v[1:2], off offset:26624
.LBB5_35:
	s_or_b32 exec_lo, exec_lo, s12
	v_or_b32_e32 v31, 0xe00, v0
	s_delay_alu instid0(VALU_DEP_1) | instskip(NEXT) | instid1(VALU_DEP_1)
	v_cmp_gt_u32_e64 s12, s63, v31
                                        ; implicit-def: $vgpr31_vgpr32
	s_and_saveexec_b32 s13, s12
	s_cbranch_execz .LBB5_37
; %bb.36:
	global_load_b64 v[31:32], v[1:2], off offset:28672
.LBB5_37:
	s_or_b32 exec_lo, exec_lo, s13
	v_or_b32_e32 v33, 0xf00, v0
	s_delay_alu instid0(VALU_DEP_1) | instskip(NEXT) | instid1(VALU_DEP_1)
	v_cmp_gt_u32_e64 s13, s63, v33
                                        ; implicit-def: $vgpr33_vgpr34
	s_and_saveexec_b32 s14, s13
	s_cbranch_execz .LBB5_39
; %bb.38:
	global_load_b64 v[33:34], v[1:2], off offset:30720
.LBB5_39:
	s_or_b32 exec_lo, exec_lo, s14
	v_or_b32_e32 v35, 0x1000, v0
	s_delay_alu instid0(VALU_DEP_1) | instskip(NEXT) | instid1(VALU_DEP_1)
	v_cmp_gt_u32_e64 s14, s63, v35
                                        ; implicit-def: $vgpr35_vgpr36
	s_and_saveexec_b32 s15, s14
	s_cbranch_execz .LBB5_41
; %bb.40:
	global_load_b64 v[35:36], v[1:2], off offset:32768
.LBB5_41:
	s_or_b32 exec_lo, exec_lo, s15
	v_or_b32_e32 v37, 0x1100, v0
	s_delay_alu instid0(VALU_DEP_1) | instskip(NEXT) | instid1(VALU_DEP_1)
	v_cmp_gt_u32_e64 s15, s63, v37
                                        ; implicit-def: $vgpr37_vgpr38
	s_and_saveexec_b32 s16, s15
	s_cbranch_execz .LBB5_43
; %bb.42:
	global_load_b64 v[37:38], v[1:2], off offset:34816
.LBB5_43:
	s_or_b32 exec_lo, exec_lo, s16
	v_or_b32_e32 v39, 0x1200, v0
	s_delay_alu instid0(VALU_DEP_1) | instskip(NEXT) | instid1(VALU_DEP_1)
	v_cmp_gt_u32_e64 s16, s63, v39
                                        ; implicit-def: $vgpr39_vgpr40
	s_and_saveexec_b32 s17, s16
	s_cbranch_execz .LBB5_45
; %bb.44:
	global_load_b64 v[39:40], v[1:2], off offset:36864
.LBB5_45:
	s_or_b32 exec_lo, exec_lo, s17
	v_or_b32_e32 v41, 0x1300, v0
	s_delay_alu instid0(VALU_DEP_1) | instskip(NEXT) | instid1(VALU_DEP_1)
	v_cmp_gt_u32_e64 s17, s63, v41
                                        ; implicit-def: $vgpr41_vgpr42
	s_and_saveexec_b32 s18, s17
	s_cbranch_execz .LBB5_47
; %bb.46:
	global_load_b64 v[41:42], v[1:2], off offset:38912
.LBB5_47:
	s_or_b32 exec_lo, exec_lo, s18
	v_or_b32_e32 v43, 0x1400, v0
	s_delay_alu instid0(VALU_DEP_1) | instskip(NEXT) | instid1(VALU_DEP_1)
	v_cmp_gt_u32_e64 s18, s63, v43
                                        ; implicit-def: $vgpr43_vgpr44
	s_and_saveexec_b32 s19, s18
	s_cbranch_execz .LBB5_49
; %bb.48:
	global_load_b64 v[43:44], v[1:2], off offset:40960
.LBB5_49:
	s_or_b32 exec_lo, exec_lo, s19
	v_or_b32_e32 v45, 0x1500, v0
	s_delay_alu instid0(VALU_DEP_1) | instskip(NEXT) | instid1(VALU_DEP_1)
	v_cmp_gt_u32_e64 s19, s63, v45
                                        ; implicit-def: $vgpr45_vgpr46
	s_and_saveexec_b32 s20, s19
	s_cbranch_execz .LBB5_51
; %bb.50:
	global_load_b64 v[45:46], v[1:2], off offset:43008
.LBB5_51:
	s_or_b32 exec_lo, exec_lo, s20
	v_or_b32_e32 v47, 0x1600, v0
	s_delay_alu instid0(VALU_DEP_1) | instskip(NEXT) | instid1(VALU_DEP_1)
	v_cmp_gt_u32_e64 s20, s63, v47
                                        ; implicit-def: $vgpr47_vgpr48
	s_and_saveexec_b32 s21, s20
	s_cbranch_execz .LBB5_53
; %bb.52:
	global_load_b64 v[47:48], v[1:2], off offset:45056
.LBB5_53:
	s_or_b32 exec_lo, exec_lo, s21
	v_or_b32_e32 v49, 0x1700, v0
	s_delay_alu instid0(VALU_DEP_1) | instskip(NEXT) | instid1(VALU_DEP_1)
	v_cmp_gt_u32_e64 s21, s63, v49
                                        ; implicit-def: $vgpr49_vgpr50
	s_and_saveexec_b32 s22, s21
	s_cbranch_execz .LBB5_55
; %bb.54:
	global_load_b64 v[49:50], v[1:2], off offset:47104
.LBB5_55:
	s_or_b32 exec_lo, exec_lo, s22
	v_or_b32_e32 v51, 0x1800, v0
	s_delay_alu instid0(VALU_DEP_1) | instskip(NEXT) | instid1(VALU_DEP_1)
	v_cmp_gt_u32_e64 s22, s63, v51
                                        ; implicit-def: $vgpr51_vgpr52
	s_and_saveexec_b32 s23, s22
	s_cbranch_execz .LBB5_57
; %bb.56:
	global_load_b64 v[51:52], v[1:2], off offset:49152
.LBB5_57:
	s_or_b32 exec_lo, exec_lo, s23
	v_or_b32_e32 v53, 0x1900, v0
	s_delay_alu instid0(VALU_DEP_1) | instskip(NEXT) | instid1(VALU_DEP_1)
	v_cmp_gt_u32_e64 s23, s63, v53
                                        ; implicit-def: $vgpr53_vgpr54
	s_and_saveexec_b32 s24, s23
	s_cbranch_execz .LBB5_59
; %bb.58:
	global_load_b64 v[53:54], v[1:2], off offset:51200
.LBB5_59:
	s_or_b32 exec_lo, exec_lo, s24
	v_or_b32_e32 v55, 0x1a00, v0
	s_delay_alu instid0(VALU_DEP_1) | instskip(NEXT) | instid1(VALU_DEP_1)
	v_cmp_gt_u32_e64 s24, s63, v55
                                        ; implicit-def: $vgpr55_vgpr56
	s_and_saveexec_b32 s25, s24
	s_cbranch_execz .LBB5_61
; %bb.60:
	global_load_b64 v[55:56], v[1:2], off offset:53248
.LBB5_61:
	s_or_b32 exec_lo, exec_lo, s25
	v_or_b32_e32 v57, 0x1b00, v0
	s_delay_alu instid0(VALU_DEP_1) | instskip(NEXT) | instid1(VALU_DEP_1)
	v_cmp_gt_u32_e64 s25, s63, v57
                                        ; implicit-def: $vgpr57_vgpr58
	s_and_saveexec_b32 s26, s25
	s_cbranch_execz .LBB5_63
; %bb.62:
	global_load_b64 v[57:58], v[1:2], off offset:55296
.LBB5_63:
	s_or_b32 exec_lo, exec_lo, s26
	v_or_b32_e32 v59, 0x1c00, v0
	s_delay_alu instid0(VALU_DEP_1) | instskip(NEXT) | instid1(VALU_DEP_1)
	v_cmp_gt_u32_e64 s26, s63, v59
                                        ; implicit-def: $vgpr59_vgpr60
	s_and_saveexec_b32 s27, s26
	s_cbranch_execz .LBB5_65
; %bb.64:
	global_load_b64 v[59:60], v[1:2], off offset:57344
.LBB5_65:
	s_or_b32 exec_lo, exec_lo, s27
	v_or_b32_e32 v61, 0x1d00, v0
	s_delay_alu instid0(VALU_DEP_1) | instskip(NEXT) | instid1(VALU_DEP_1)
	v_cmp_gt_u32_e64 s27, s63, v61
                                        ; implicit-def: $vgpr61_vgpr62
	s_and_saveexec_b32 s28, s27
	s_cbranch_execz .LBB5_67
; %bb.66:
	global_load_b64 v[61:62], v[1:2], off offset:59392
.LBB5_67:
	s_or_b32 exec_lo, exec_lo, s28
	v_or_b32_e32 v63, 0x1e00, v0
	s_delay_alu instid0(VALU_DEP_1) | instskip(NEXT) | instid1(VALU_DEP_1)
	v_cmp_gt_u32_e64 s28, s63, v63
                                        ; implicit-def: $vgpr63_vgpr64
	s_and_saveexec_b32 s29, s28
	s_cbranch_execz .LBB5_69
; %bb.68:
	global_load_b64 v[63:64], v[1:2], off offset:61440
.LBB5_69:
	s_or_b32 exec_lo, exec_lo, s29
	v_or_b32_e32 v65, 0x1f00, v0
	s_delay_alu instid0(VALU_DEP_1) | instskip(NEXT) | instid1(VALU_DEP_1)
	v_cmp_gt_u32_e64 s29, s63, v65
                                        ; implicit-def: $vgpr65_vgpr66
	s_and_saveexec_b32 s30, s29
	s_cbranch_execz .LBB5_71
; %bb.70:
	global_load_b64 v[65:66], v[1:2], off offset:63488
.LBB5_71:
	s_or_b32 exec_lo, exec_lo, s30
	v_or_b32_e32 v67, 0x2000, v0
	s_delay_alu instid0(VALU_DEP_1) | instskip(NEXT) | instid1(VALU_DEP_1)
	v_cmp_gt_u32_e64 s30, s63, v67
                                        ; implicit-def: $vgpr67_vgpr68
	s_and_saveexec_b32 s31, s30
	s_cbranch_execz .LBB5_73
; %bb.72:
	global_load_b64 v[67:68], v[1:2], off offset:65536
.LBB5_73:
	s_or_b32 exec_lo, exec_lo, s31
	v_or_b32_e32 v69, 0x2100, v0
	s_delay_alu instid0(VALU_DEP_1) | instskip(NEXT) | instid1(VALU_DEP_1)
	v_cmp_gt_u32_e64 s31, s63, v69
                                        ; implicit-def: $vgpr69_vgpr70
	s_and_saveexec_b32 s33, s31
	s_cbranch_execz .LBB5_75
; %bb.74:
	global_load_b64 v[69:70], v[1:2], off offset:67584
.LBB5_75:
	s_or_b32 exec_lo, exec_lo, s33
	v_or_b32_e32 v71, 0x2200, v0
	s_delay_alu instid0(VALU_DEP_1) | instskip(NEXT) | instid1(VALU_DEP_1)
	v_cmp_gt_u32_e64 s33, s63, v71
                                        ; implicit-def: $vgpr71_vgpr72
	s_and_saveexec_b32 s34, s33
	s_cbranch_execz .LBB5_77
; %bb.76:
	global_load_b64 v[71:72], v[1:2], off offset:69632
.LBB5_77:
	s_or_b32 exec_lo, exec_lo, s34
	v_or_b32_e32 v73, 0x2300, v0
	s_delay_alu instid0(VALU_DEP_1) | instskip(NEXT) | instid1(VALU_DEP_1)
	v_cmp_gt_u32_e64 s34, s63, v73
                                        ; implicit-def: $vgpr73_vgpr74
	s_and_saveexec_b32 s35, s34
	s_cbranch_execz .LBB5_79
; %bb.78:
	global_load_b64 v[73:74], v[1:2], off offset:71680
.LBB5_79:
	s_or_b32 exec_lo, exec_lo, s35
	v_or_b32_e32 v75, 0x2400, v0
	s_delay_alu instid0(VALU_DEP_1) | instskip(NEXT) | instid1(VALU_DEP_1)
	v_cmp_gt_u32_e64 s35, s63, v75
                                        ; implicit-def: $vgpr75_vgpr76
	s_and_saveexec_b32 s36, s35
	s_cbranch_execz .LBB5_81
; %bb.80:
	global_load_b64 v[75:76], v[1:2], off offset:73728
.LBB5_81:
	s_or_b32 exec_lo, exec_lo, s36
	v_or_b32_e32 v77, 0x2500, v0
	s_delay_alu instid0(VALU_DEP_1) | instskip(NEXT) | instid1(VALU_DEP_1)
	v_cmp_gt_u32_e64 s36, s63, v77
                                        ; implicit-def: $vgpr77_vgpr78
	s_and_saveexec_b32 s37, s36
	s_cbranch_execz .LBB5_83
; %bb.82:
	global_load_b64 v[77:78], v[1:2], off offset:75776
.LBB5_83:
	s_or_b32 exec_lo, exec_lo, s37
	v_or_b32_e32 v79, 0x2600, v0
	s_delay_alu instid0(VALU_DEP_1) | instskip(NEXT) | instid1(VALU_DEP_1)
	v_cmp_gt_u32_e64 s37, s63, v79
                                        ; implicit-def: $vgpr79_vgpr80
	s_and_saveexec_b32 s38, s37
	s_cbranch_execz .LBB5_85
; %bb.84:
	global_load_b64 v[79:80], v[1:2], off offset:77824
.LBB5_85:
	s_or_b32 exec_lo, exec_lo, s38
	v_or_b32_e32 v81, 0x2700, v0
	s_delay_alu instid0(VALU_DEP_1) | instskip(NEXT) | instid1(VALU_DEP_1)
	v_cmp_gt_u32_e64 s38, s63, v81
                                        ; implicit-def: $vgpr81_vgpr82
	s_and_saveexec_b32 s39, s38
	s_cbranch_execz .LBB5_87
; %bb.86:
	global_load_b64 v[81:82], v[1:2], off offset:79872
.LBB5_87:
	s_or_b32 exec_lo, exec_lo, s39
	v_or_b32_e32 v83, 0x2800, v0
	s_delay_alu instid0(VALU_DEP_1) | instskip(NEXT) | instid1(VALU_DEP_1)
	v_cmp_gt_u32_e64 s39, s63, v83
                                        ; implicit-def: $vgpr83_vgpr84
	s_and_saveexec_b32 s40, s39
	s_cbranch_execz .LBB5_89
; %bb.88:
	global_load_b64 v[83:84], v[1:2], off offset:81920
.LBB5_89:
	s_or_b32 exec_lo, exec_lo, s40
	v_or_b32_e32 v85, 0x2900, v0
	s_delay_alu instid0(VALU_DEP_1) | instskip(NEXT) | instid1(VALU_DEP_1)
	v_cmp_gt_u32_e64 s40, s63, v85
                                        ; implicit-def: $vgpr85_vgpr86
	s_and_saveexec_b32 s41, s40
	s_cbranch_execz .LBB5_91
; %bb.90:
	global_load_b64 v[85:86], v[1:2], off offset:83968
.LBB5_91:
	s_or_b32 exec_lo, exec_lo, s41
	v_or_b32_e32 v87, 0x2a00, v0
	s_delay_alu instid0(VALU_DEP_1) | instskip(NEXT) | instid1(VALU_DEP_1)
	v_cmp_gt_u32_e64 s41, s63, v87
                                        ; implicit-def: $vgpr87_vgpr88
	s_and_saveexec_b32 s42, s41
	s_cbranch_execz .LBB5_93
; %bb.92:
	global_load_b64 v[87:88], v[1:2], off offset:86016
.LBB5_93:
	s_or_b32 exec_lo, exec_lo, s42
	v_or_b32_e32 v89, 0x2b00, v0
	s_delay_alu instid0(VALU_DEP_1) | instskip(NEXT) | instid1(VALU_DEP_1)
	v_cmp_gt_u32_e64 s42, s63, v89
                                        ; implicit-def: $vgpr89_vgpr90
	s_and_saveexec_b32 s43, s42
	s_cbranch_execz .LBB5_95
; %bb.94:
	global_load_b64 v[89:90], v[1:2], off offset:88064
.LBB5_95:
	s_or_b32 exec_lo, exec_lo, s43
	v_or_b32_e32 v91, 0x2c00, v0
	s_delay_alu instid0(VALU_DEP_1) | instskip(NEXT) | instid1(VALU_DEP_1)
	v_cmp_gt_u32_e64 s43, s63, v91
                                        ; implicit-def: $vgpr91_vgpr92
	s_and_saveexec_b32 s44, s43
	s_cbranch_execz .LBB5_97
; %bb.96:
	global_load_b64 v[91:92], v[1:2], off offset:90112
.LBB5_97:
	s_or_b32 exec_lo, exec_lo, s44
	v_or_b32_e32 v93, 0x2d00, v0
	s_delay_alu instid0(VALU_DEP_1) | instskip(NEXT) | instid1(VALU_DEP_1)
	v_cmp_gt_u32_e64 s44, s63, v93
                                        ; implicit-def: $vgpr93_vgpr94
	s_and_saveexec_b32 s45, s44
	s_cbranch_execz .LBB5_99
; %bb.98:
	global_load_b64 v[93:94], v[1:2], off offset:92160
.LBB5_99:
	s_or_b32 exec_lo, exec_lo, s45
	v_or_b32_e32 v95, 0x2e00, v0
	s_delay_alu instid0(VALU_DEP_1) | instskip(NEXT) | instid1(VALU_DEP_1)
	v_cmp_gt_u32_e64 s45, s63, v95
                                        ; implicit-def: $vgpr95_vgpr96
	s_and_saveexec_b32 s46, s45
	s_cbranch_execz .LBB5_101
; %bb.100:
	global_load_b64 v[95:96], v[1:2], off offset:94208
.LBB5_101:
	s_or_b32 exec_lo, exec_lo, s46
	v_or_b32_e32 v97, 0x2f00, v0
	s_delay_alu instid0(VALU_DEP_1) | instskip(NEXT) | instid1(VALU_DEP_1)
	v_cmp_gt_u32_e64 s46, s63, v97
                                        ; implicit-def: $vgpr97_vgpr98
	s_and_saveexec_b32 s47, s46
	s_cbranch_execz .LBB5_103
; %bb.102:
	global_load_b64 v[97:98], v[1:2], off offset:96256
.LBB5_103:
	s_or_b32 exec_lo, exec_lo, s47
	v_or_b32_e32 v99, 0x3000, v0
	s_delay_alu instid0(VALU_DEP_1) | instskip(NEXT) | instid1(VALU_DEP_1)
	v_cmp_gt_u32_e64 s47, s63, v99
                                        ; implicit-def: $vgpr99_vgpr100
	s_and_saveexec_b32 s48, s47
	s_cbranch_execz .LBB5_105
; %bb.104:
	global_load_b64 v[99:100], v[1:2], off offset:98304
.LBB5_105:
	s_or_b32 exec_lo, exec_lo, s48
	v_or_b32_e32 v101, 0x3100, v0
	s_delay_alu instid0(VALU_DEP_1) | instskip(NEXT) | instid1(VALU_DEP_1)
	v_cmp_gt_u32_e64 s48, s63, v101
                                        ; implicit-def: $vgpr101_vgpr102
	s_and_saveexec_b32 s49, s48
	s_cbranch_execz .LBB5_107
; %bb.106:
	global_load_b64 v[101:102], v[1:2], off offset:100352
.LBB5_107:
	s_or_b32 exec_lo, exec_lo, s49
	v_or_b32_e32 v103, 0x3200, v0
	s_delay_alu instid0(VALU_DEP_1) | instskip(NEXT) | instid1(VALU_DEP_1)
	v_cmp_gt_u32_e64 s49, s63, v103
                                        ; implicit-def: $vgpr103_vgpr104
	s_and_saveexec_b32 s50, s49
	s_cbranch_execz .LBB5_109
; %bb.108:
	global_load_b64 v[103:104], v[1:2], off offset:102400
.LBB5_109:
	s_or_b32 exec_lo, exec_lo, s50
	v_or_b32_e32 v105, 0x3300, v0
	s_delay_alu instid0(VALU_DEP_1) | instskip(NEXT) | instid1(VALU_DEP_1)
	v_cmp_gt_u32_e64 s50, s63, v105
                                        ; implicit-def: $vgpr105_vgpr106
	s_and_saveexec_b32 s51, s50
	s_cbranch_execz .LBB5_111
; %bb.110:
	global_load_b64 v[105:106], v[1:2], off offset:104448
.LBB5_111:
	s_or_b32 exec_lo, exec_lo, s51
	v_or_b32_e32 v107, 0x3400, v0
	s_delay_alu instid0(VALU_DEP_1) | instskip(NEXT) | instid1(VALU_DEP_1)
	v_cmp_gt_u32_e64 s51, s63, v107
                                        ; implicit-def: $vgpr107_vgpr108
	s_and_saveexec_b32 s52, s51
	s_cbranch_execz .LBB5_113
; %bb.112:
	global_load_b64 v[107:108], v[1:2], off offset:106496
.LBB5_113:
	s_or_b32 exec_lo, exec_lo, s52
	v_or_b32_e32 v109, 0x3500, v0
	s_delay_alu instid0(VALU_DEP_1) | instskip(NEXT) | instid1(VALU_DEP_1)
	v_cmp_gt_u32_e64 s52, s63, v109
                                        ; implicit-def: $vgpr109_vgpr110
	s_and_saveexec_b32 s53, s52
	s_cbranch_execz .LBB5_115
; %bb.114:
	global_load_b64 v[109:110], v[1:2], off offset:108544
.LBB5_115:
	s_or_b32 exec_lo, exec_lo, s53
	v_or_b32_e32 v111, 0x3600, v0
	s_delay_alu instid0(VALU_DEP_1) | instskip(NEXT) | instid1(VALU_DEP_1)
	v_cmp_gt_u32_e64 s53, s63, v111
                                        ; implicit-def: $vgpr111_vgpr112
	s_and_saveexec_b32 s54, s53
	s_cbranch_execz .LBB5_117
; %bb.116:
	global_load_b64 v[111:112], v[1:2], off offset:110592
.LBB5_117:
	s_or_b32 exec_lo, exec_lo, s54
	v_or_b32_e32 v113, 0x3700, v0
	s_delay_alu instid0(VALU_DEP_1) | instskip(NEXT) | instid1(VALU_DEP_1)
	v_cmp_gt_u32_e64 s54, s63, v113
                                        ; implicit-def: $vgpr113_vgpr114
	s_and_saveexec_b32 s55, s54
	s_cbranch_execz .LBB5_119
; %bb.118:
	global_load_b64 v[113:114], v[1:2], off offset:112640
.LBB5_119:
	s_or_b32 exec_lo, exec_lo, s55
	v_or_b32_e32 v115, 0x3800, v0
	s_delay_alu instid0(VALU_DEP_1) | instskip(NEXT) | instid1(VALU_DEP_1)
	v_cmp_gt_u32_e64 s55, s63, v115
                                        ; implicit-def: $vgpr115_vgpr116
	s_and_saveexec_b32 s56, s55
	s_cbranch_execz .LBB5_121
; %bb.120:
	global_load_b64 v[115:116], v[1:2], off offset:114688
.LBB5_121:
	s_or_b32 exec_lo, exec_lo, s56
	v_or_b32_e32 v117, 0x3900, v0
	s_delay_alu instid0(VALU_DEP_1) | instskip(NEXT) | instid1(VALU_DEP_1)
	v_cmp_gt_u32_e64 s56, s63, v117
                                        ; implicit-def: $vgpr117_vgpr118
	s_and_saveexec_b32 s57, s56
	s_cbranch_execz .LBB5_123
; %bb.122:
	global_load_b64 v[117:118], v[1:2], off offset:116736
.LBB5_123:
	s_or_b32 exec_lo, exec_lo, s57
	v_or_b32_e32 v119, 0x3a00, v0
	s_delay_alu instid0(VALU_DEP_1) | instskip(NEXT) | instid1(VALU_DEP_1)
	v_cmp_gt_u32_e64 s57, s63, v119
                                        ; implicit-def: $vgpr119_vgpr120
	s_and_saveexec_b32 s58, s57
	s_cbranch_execz .LBB5_125
; %bb.124:
	global_load_b64 v[119:120], v[1:2], off offset:118784
.LBB5_125:
	s_or_b32 exec_lo, exec_lo, s58
	v_or_b32_e32 v121, 0x3b00, v0
	s_delay_alu instid0(VALU_DEP_1) | instskip(NEXT) | instid1(VALU_DEP_1)
	v_cmp_gt_u32_e64 s58, s63, v121
                                        ; implicit-def: $vgpr121_vgpr122
	s_and_saveexec_b32 s59, s58
	s_cbranch_execz .LBB5_127
; %bb.126:
	global_load_b64 v[121:122], v[1:2], off offset:120832
.LBB5_127:
	s_or_b32 exec_lo, exec_lo, s59
	v_or_b32_e32 v123, 0x3c00, v0
	s_delay_alu instid0(VALU_DEP_1) | instskip(NEXT) | instid1(VALU_DEP_1)
	v_cmp_gt_u32_e64 s59, s63, v123
                                        ; implicit-def: $vgpr123_vgpr124
	s_and_saveexec_b32 s60, s59
	s_cbranch_execz .LBB5_129
; %bb.128:
	global_load_b64 v[123:124], v[1:2], off offset:122880
.LBB5_129:
	s_or_b32 exec_lo, exec_lo, s60
	v_or_b32_e32 v125, 0x3d00, v0
	s_delay_alu instid0(VALU_DEP_1) | instskip(NEXT) | instid1(VALU_DEP_1)
	v_cmp_gt_u32_e64 s60, s63, v125
                                        ; implicit-def: $vgpr125_vgpr126
	s_and_saveexec_b32 s61, s60
	s_cbranch_execz .LBB5_131
; %bb.130:
	global_load_b64 v[125:126], v[1:2], off offset:124928
.LBB5_131:
	s_or_b32 exec_lo, exec_lo, s61
	v_or_b32_e32 v127, 0x3e00, v0
	s_delay_alu instid0(VALU_DEP_1) | instskip(NEXT) | instid1(VALU_DEP_1)
	v_cmp_gt_u32_e64 s62, s63, v127
                                        ; implicit-def: $vgpr127_vgpr128
	s_and_saveexec_b32 s61, s62
	s_cbranch_execz .LBB5_133
; %bb.132:
	global_load_b64 v[127:128], v[1:2], off offset:126976
.LBB5_133:
	s_or_b32 exec_lo, exec_lo, s61
	v_or_b32_e32 v129, 0x3f00, v0
	s_delay_alu instid0(VALU_DEP_1) | instskip(NEXT) | instid1(VALU_DEP_1)
	v_cmp_gt_u32_e64 s61, s63, v129
                                        ; implicit-def: $vgpr129_vgpr130
	s_and_saveexec_b32 s64, s61
	s_cbranch_execz .LBB5_135
; %bb.134:
	global_load_b64 v[129:130], v[1:2], off offset:129024
.LBB5_135:
	s_or_b32 exec_lo, exec_lo, s64
	s_wait_loadcnt 0x0
	v_add_f64_e32 v[1:2], v[3:4], v[5:6]
	v_add_nc_u32_e32 v6, 1, v131
	s_delay_alu instid0(VALU_DEP_2) | instskip(SKIP_1) | instid1(VALU_DEP_2)
	v_dual_cndmask_b32 v2, v4, v2 :: v_dual_cndmask_b32 v1, v3, v1
	v_cmp_ne_u32_e32 vcc_lo, 31, v131
	v_add_f64_e32 v[3:4], v[1:2], v[7:8]
	s_wait_alu 0xfffd
	v_add_co_ci_u32_e32 v5, vcc_lo, 0, v131, vcc_lo
	s_delay_alu instid0(VALU_DEP_1) | instskip(NEXT) | instid1(VALU_DEP_3)
	v_lshlrev_b32_e32 v5, 2, v5
	v_cndmask_b32_e64 v2, v2, v4, s0
	s_delay_alu instid0(VALU_DEP_4) | instskip(SKIP_1) | instid1(VALU_DEP_1)
	v_cndmask_b32_e64 v1, v1, v3, s0
	s_min_u32 s0, s63, 0x100
	v_add_f64_e32 v[3:4], v[1:2], v[9:10]
	s_delay_alu instid0(VALU_DEP_1) | instskip(NEXT) | instid1(VALU_DEP_2)
	v_cndmask_b32_e64 v2, v2, v4, s1
	v_cndmask_b32_e64 v1, v1, v3, s1
	s_mov_b32 s1, exec_lo
	s_delay_alu instid0(VALU_DEP_1) | instskip(NEXT) | instid1(VALU_DEP_1)
	v_add_f64_e32 v[3:4], v[1:2], v[11:12]
	v_cndmask_b32_e64 v2, v2, v4, s2
	s_delay_alu instid0(VALU_DEP_2) | instskip(NEXT) | instid1(VALU_DEP_1)
	v_cndmask_b32_e64 v1, v1, v3, s2
	v_add_f64_e32 v[3:4], v[1:2], v[13:14]
	s_delay_alu instid0(VALU_DEP_1) | instskip(NEXT) | instid1(VALU_DEP_2)
	v_cndmask_b32_e64 v2, v2, v4, s3
	v_cndmask_b32_e64 v1, v1, v3, s3
	s_delay_alu instid0(VALU_DEP_1) | instskip(NEXT) | instid1(VALU_DEP_1)
	v_add_f64_e32 v[3:4], v[1:2], v[15:16]
	v_cndmask_b32_e64 v2, v2, v4, s4
	s_delay_alu instid0(VALU_DEP_2) | instskip(NEXT) | instid1(VALU_DEP_1)
	v_cndmask_b32_e64 v1, v1, v3, s4
	v_add_f64_e32 v[3:4], v[1:2], v[17:18]
	s_delay_alu instid0(VALU_DEP_1) | instskip(NEXT) | instid1(VALU_DEP_2)
	v_cndmask_b32_e64 v2, v2, v4, s5
	v_cndmask_b32_e64 v1, v1, v3, s5
	;; [unrolled: 9-line block ×30, first 2 shown]
	ds_bpermute_b32 v1, v5, v3
	ds_bpermute_b32 v2, v5, v4
	v_and_b32_e32 v5, 0xe0, v0
	s_wait_alu 0xfffe
	s_delay_alu instid0(VALU_DEP_1) | instskip(NEXT) | instid1(VALU_DEP_1)
	v_sub_nc_u32_e64 v5, s0, v5 clamp
	v_cmpx_lt_u32_e64 v6, v5
	s_cbranch_execz .LBB5_137
; %bb.136:
	s_wait_dscnt 0x0
	v_add_f64_e32 v[3:4], v[3:4], v[1:2]
.LBB5_137:
	s_or_b32 exec_lo, exec_lo, s1
	v_cmp_gt_u32_e32 vcc_lo, 30, v131
	v_add_nc_u32_e32 v6, 2, v131
	s_mov_b32 s1, exec_lo
	s_wait_dscnt 0x1
	s_wait_alu 0xfffd
	v_cndmask_b32_e64 v1, 0, 1, vcc_lo
	s_delay_alu instid0(VALU_DEP_1) | instskip(SKIP_1) | instid1(VALU_DEP_1)
	v_lshlrev_b32_e32 v1, 1, v1
	s_wait_dscnt 0x0
	v_add_lshl_u32 v2, v1, v131, 2
	ds_bpermute_b32 v1, v2, v3
	ds_bpermute_b32 v2, v2, v4
	v_cmpx_lt_u32_e64 v6, v5
	s_cbranch_execz .LBB5_139
; %bb.138:
	s_wait_dscnt 0x0
	v_add_f64_e32 v[3:4], v[3:4], v[1:2]
.LBB5_139:
	s_wait_alu 0xfffe
	s_or_b32 exec_lo, exec_lo, s1
	v_cmp_gt_u32_e32 vcc_lo, 28, v131
	v_add_nc_u32_e32 v6, 4, v131
	s_mov_b32 s1, exec_lo
	s_wait_dscnt 0x1
	s_wait_alu 0xfffd
	v_cndmask_b32_e64 v1, 0, 1, vcc_lo
	s_delay_alu instid0(VALU_DEP_1) | instskip(SKIP_1) | instid1(VALU_DEP_1)
	v_lshlrev_b32_e32 v1, 2, v1
	s_wait_dscnt 0x0
	v_add_lshl_u32 v2, v1, v131, 2
	ds_bpermute_b32 v1, v2, v3
	ds_bpermute_b32 v2, v2, v4
	v_cmpx_lt_u32_e64 v6, v5
	s_cbranch_execz .LBB5_141
; %bb.140:
	s_wait_dscnt 0x0
	v_add_f64_e32 v[3:4], v[3:4], v[1:2]
.LBB5_141:
	s_wait_alu 0xfffe
	;; [unrolled: 20-line block ×4, first 2 shown]
	s_or_b32 exec_lo, exec_lo, s1
	s_delay_alu instid0(SALU_CYCLE_1)
	s_mov_b32 s1, exec_lo
	v_cmpx_eq_u32_e32 0, v131
	s_cbranch_execz .LBB5_147
; %bb.146:
	s_wait_dscnt 0x1
	v_lshrrev_b32_e32 v1, 2, v0
	s_delay_alu instid0(VALU_DEP_1)
	v_and_b32_e32 v1, 56, v1
	ds_store_b64 v1, v[3:4] offset:64
.LBB5_147:
	s_wait_alu 0xfffe
	s_or_b32 exec_lo, exec_lo, s1
	s_delay_alu instid0(SALU_CYCLE_1)
	s_mov_b32 s1, exec_lo
	global_wb scope:SCOPE_SE
	s_wait_dscnt 0x0
	s_barrier_signal -1
	s_barrier_wait -1
	global_inv scope:SCOPE_SE
	v_cmpx_gt_u32_e32 8, v0
	s_cbranch_execz .LBB5_155
; %bb.148:
	v_lshlrev_b32_e32 v1, 3, v131
	v_and_b32_e32 v5, 7, v131
	s_add_co_i32 s0, s0, 31
	s_mov_b32 s2, exec_lo
	s_wait_alu 0xfffe
	s_lshr_b32 s0, s0, 5
	ds_load_b64 v[3:4], v1 offset:64
	v_cmp_ne_u32_e32 vcc_lo, 7, v5
	v_add_nc_u32_e32 v6, 1, v5
	s_wait_alu 0xfffd
	v_add_co_ci_u32_e32 v1, vcc_lo, 0, v131, vcc_lo
	s_delay_alu instid0(VALU_DEP_1)
	v_lshlrev_b32_e32 v2, 2, v1
	s_wait_dscnt 0x0
	ds_bpermute_b32 v1, v2, v3
	ds_bpermute_b32 v2, v2, v4
	s_wait_alu 0xfffe
	v_cmpx_gt_u32_e64 s0, v6
	s_cbranch_execz .LBB5_150
; %bb.149:
	s_wait_dscnt 0x0
	v_add_f64_e32 v[3:4], v[3:4], v[1:2]
.LBB5_150:
	s_or_b32 exec_lo, exec_lo, s2
	v_cmp_gt_u32_e32 vcc_lo, 6, v5
	v_add_nc_u32_e32 v6, 2, v5
	s_mov_b32 s2, exec_lo
	s_wait_dscnt 0x1
	s_wait_alu 0xfffd
	v_cndmask_b32_e64 v1, 0, 1, vcc_lo
	s_delay_alu instid0(VALU_DEP_1) | instskip(SKIP_1) | instid1(VALU_DEP_1)
	v_lshlrev_b32_e32 v1, 1, v1
	s_wait_dscnt 0x0
	v_add_lshl_u32 v2, v1, v131, 2
	ds_bpermute_b32 v1, v2, v3
	ds_bpermute_b32 v2, v2, v4
	v_cmpx_gt_u32_e64 s0, v6
	s_cbranch_execz .LBB5_152
; %bb.151:
	s_wait_dscnt 0x0
	v_add_f64_e32 v[3:4], v[3:4], v[1:2]
.LBB5_152:
	s_wait_alu 0xfffe
	s_or_b32 exec_lo, exec_lo, s2
	v_cmp_gt_u32_e32 vcc_lo, 4, v5
	v_add_nc_u32_e32 v5, 4, v5
	s_wait_dscnt 0x1
	s_wait_alu 0xfffd
	v_cndmask_b32_e64 v1, 0, 1, vcc_lo
	s_delay_alu instid0(VALU_DEP_2) | instskip(NEXT) | instid1(VALU_DEP_2)
	v_cmp_gt_u32_e32 vcc_lo, s0, v5
	v_lshlrev_b32_e32 v1, 2, v1
	s_wait_dscnt 0x0
	s_delay_alu instid0(VALU_DEP_1)
	v_add_lshl_u32 v2, v1, v131, 2
	ds_bpermute_b32 v1, v2, v3
	ds_bpermute_b32 v2, v2, v4
	s_and_saveexec_b32 s0, vcc_lo
	s_cbranch_execz .LBB5_154
; %bb.153:
	s_wait_dscnt 0x0
	v_add_f64_e32 v[3:4], v[3:4], v[1:2]
.LBB5_154:
	s_wait_alu 0xfffe
	s_or_b32 exec_lo, exec_lo, s0
.LBB5_155:
	s_wait_alu 0xfffe
	s_or_b32 exec_lo, exec_lo, s1
.LBB5_156:
	s_delay_alu instid0(SALU_CYCLE_1)
	s_mov_b32 s0, exec_lo
	v_cmpx_eq_u32_e32 0, v0
	s_cbranch_execz .LBB5_158
; %bb.157:
	s_wait_dscnt 0x1
	s_delay_alu instid0(VALU_DEP_2)
	v_add_f64_e32 v[0:1], s[70:71], v[3:4]
	s_lshl_b64 s[0:1], s[72:73], 3
	s_cmp_eq_u64 s[66:67], 0
	s_wait_dscnt 0x0
	v_mov_b32_e32 v2, 0
	s_cselect_b32 s2, -1, 0
	s_wait_alu 0xfffe
	s_add_nc_u64 s[0:1], s[68:69], s[0:1]
	s_delay_alu instid0(VALU_DEP_2) | instskip(NEXT) | instid1(VALU_DEP_3)
	v_cndmask_b32_e64 v1, v1, s71, s2
	v_cndmask_b32_e64 v0, v0, s70, s2
	global_store_b64 v2, v[0:1], s[0:1]
.LBB5_158:
	s_nop 0
	s_sendmsg sendmsg(MSG_DEALLOC_VGPRS)
	s_endpgm
	.section	.rodata,"a",@progbits
	.p2align	6, 0x0
	.amdhsa_kernel _ZN7rocprim6detail19block_reduce_kernelILb1ELb1ELj4ENS0_21wrapped_reduce_configINS_14default_configEdEEdPdS5_dN6thrust4plusIdEEEEvT4_mT5_T6_T7_
		.amdhsa_group_segment_fixed_size 128
		.amdhsa_private_segment_fixed_size 0
		.amdhsa_kernarg_size 36
		.amdhsa_user_sgpr_count 2
		.amdhsa_user_sgpr_dispatch_ptr 0
		.amdhsa_user_sgpr_queue_ptr 0
		.amdhsa_user_sgpr_kernarg_segment_ptr 1
		.amdhsa_user_sgpr_dispatch_id 0
		.amdhsa_user_sgpr_private_segment_size 0
		.amdhsa_wavefront_size32 1
		.amdhsa_uses_dynamic_stack 0
		.amdhsa_enable_private_segment 0
		.amdhsa_system_sgpr_workgroup_id_x 1
		.amdhsa_system_sgpr_workgroup_id_y 0
		.amdhsa_system_sgpr_workgroup_id_z 0
		.amdhsa_system_sgpr_workgroup_info 0
		.amdhsa_system_vgpr_workitem_id 0
		.amdhsa_next_free_vgpr 132
		.amdhsa_next_free_sgpr 74
		.amdhsa_reserve_vcc 1
		.amdhsa_float_round_mode_32 0
		.amdhsa_float_round_mode_16_64 0
		.amdhsa_float_denorm_mode_32 3
		.amdhsa_float_denorm_mode_16_64 3
		.amdhsa_fp16_overflow 0
		.amdhsa_workgroup_processor_mode 1
		.amdhsa_memory_ordered 1
		.amdhsa_forward_progress 0
		.amdhsa_round_robin_scheduling 0
		.amdhsa_exception_fp_ieee_invalid_op 0
		.amdhsa_exception_fp_denorm_src 0
		.amdhsa_exception_fp_ieee_div_zero 0
		.amdhsa_exception_fp_ieee_overflow 0
		.amdhsa_exception_fp_ieee_underflow 0
		.amdhsa_exception_fp_ieee_inexact 0
		.amdhsa_exception_int_div_zero 0
	.end_amdhsa_kernel
	.section	.text._ZN7rocprim6detail19block_reduce_kernelILb1ELb1ELj4ENS0_21wrapped_reduce_configINS_14default_configEdEEdPdS5_dN6thrust4plusIdEEEEvT4_mT5_T6_T7_,"axG",@progbits,_ZN7rocprim6detail19block_reduce_kernelILb1ELb1ELj4ENS0_21wrapped_reduce_configINS_14default_configEdEEdPdS5_dN6thrust4plusIdEEEEvT4_mT5_T6_T7_,comdat
.Lfunc_end5:
	.size	_ZN7rocprim6detail19block_reduce_kernelILb1ELb1ELj4ENS0_21wrapped_reduce_configINS_14default_configEdEEdPdS5_dN6thrust4plusIdEEEEvT4_mT5_T6_T7_, .Lfunc_end5-_ZN7rocprim6detail19block_reduce_kernelILb1ELb1ELj4ENS0_21wrapped_reduce_configINS_14default_configEdEEdPdS5_dN6thrust4plusIdEEEEvT4_mT5_T6_T7_
                                        ; -- End function
	.section	.AMDGPU.csdata,"",@progbits
; Kernel info:
; codeLenInByte = 7220
; NumSgprs: 76
; NumVgprs: 132
; ScratchSize: 0
; MemoryBound: 0
; FloatMode: 240
; IeeeMode: 1
; LDSByteSize: 128 bytes/workgroup (compile time only)
; SGPRBlocks: 9
; VGPRBlocks: 16
; NumSGPRsForWavesPerEU: 76
; NumVGPRsForWavesPerEU: 132
; Occupancy: 10
; WaveLimiterHint : 1
; COMPUTE_PGM_RSRC2:SCRATCH_EN: 0
; COMPUTE_PGM_RSRC2:USER_SGPR: 2
; COMPUTE_PGM_RSRC2:TRAP_HANDLER: 0
; COMPUTE_PGM_RSRC2:TGID_X_EN: 1
; COMPUTE_PGM_RSRC2:TGID_Y_EN: 0
; COMPUTE_PGM_RSRC2:TGID_Z_EN: 0
; COMPUTE_PGM_RSRC2:TIDIG_COMP_CNT: 0
	.section	.text._ZN7rocprim6detail19block_reduce_kernelILb1ELb1ELj8ENS0_21wrapped_reduce_configINS_14default_configEdEEdPdS5_dN6thrust4plusIdEEEEvT4_mT5_T6_T7_,"axG",@progbits,_ZN7rocprim6detail19block_reduce_kernelILb1ELb1ELj8ENS0_21wrapped_reduce_configINS_14default_configEdEEdPdS5_dN6thrust4plusIdEEEEvT4_mT5_T6_T7_,comdat
	.protected	_ZN7rocprim6detail19block_reduce_kernelILb1ELb1ELj8ENS0_21wrapped_reduce_configINS_14default_configEdEEdPdS5_dN6thrust4plusIdEEEEvT4_mT5_T6_T7_ ; -- Begin function _ZN7rocprim6detail19block_reduce_kernelILb1ELb1ELj8ENS0_21wrapped_reduce_configINS_14default_configEdEEdPdS5_dN6thrust4plusIdEEEEvT4_mT5_T6_T7_
	.globl	_ZN7rocprim6detail19block_reduce_kernelILb1ELb1ELj8ENS0_21wrapped_reduce_configINS_14default_configEdEEdPdS5_dN6thrust4plusIdEEEEvT4_mT5_T6_T7_
	.p2align	8
	.type	_ZN7rocprim6detail19block_reduce_kernelILb1ELb1ELj8ENS0_21wrapped_reduce_configINS_14default_configEdEEdPdS5_dN6thrust4plusIdEEEEvT4_mT5_T6_T7_,@function
_ZN7rocprim6detail19block_reduce_kernelILb1ELb1ELj8ENS0_21wrapped_reduce_configINS_14default_configEdEEdPdS5_dN6thrust4plusIdEEEEvT4_mT5_T6_T7_: ; @_ZN7rocprim6detail19block_reduce_kernelILb1ELb1ELj8ENS0_21wrapped_reduce_configINS_14default_configEdEEdPdS5_dN6thrust4plusIdEEEEvT4_mT5_T6_T7_
; %bb.0:
	s_load_b256 s[12:19], s[0:1], 0x0
                                        ; implicit-def: $vgpr254 : SGPR spill to VGPR lane
	s_mov_b32 s1, 0
	s_lshl_b32 s0, ttmp9, 15
	v_lshlrev_b32_e32 v1, 3, v0
	s_lshl_b64 s[2:3], s[0:1], 3
	s_mov_b32 s21, s1
	v_mbcnt_lo_u32_b32 v253, -1, 0
	s_mov_b32 s20, ttmp9
	s_wait_kmcnt 0x0
	s_lshr_b64 s[4:5], s[14:15], 15
	s_mov_b64 s[8:9], s[16:17]
	s_mov_b64 s[10:11], s[18:19]
	;; [unrolled: 1-line block ×3, first 2 shown]
	v_writelane_b32 v254, s4, 0
	s_add_nc_u64 s[2:3], s[12:13], s[2:3]
	s_cmp_lg_u64 s[4:5], s[20:21]
	v_add_co_u32 v1, s1, s2, v1
	v_writelane_b32 v254, s5, 1
	v_add_co_ci_u32_e64 v2, null, s3, 0, s1
	v_writelane_b32 v254, s6, 2
	v_writelane_b32 v254, s7, 3
	;; [unrolled: 1-line block ×6, first 2 shown]
	s_cbranch_scc0 .LBB6_6
; %bb.1:
	s_clause 0x9
	global_load_b64 v[3:4], v[1:2], off
	global_load_b64 v[5:6], v[1:2], off offset:2048
	global_load_b64 v[7:8], v[1:2], off offset:4096
	;; [unrolled: 1-line block ×9, first 2 shown]
	s_mov_b32 s1, exec_lo
	s_wait_loadcnt 0x8
	v_add_f64_e32 v[3:4], v[3:4], v[5:6]
	global_load_b64 v[5:6], v[1:2], off offset:20480
	s_wait_loadcnt 0x8
	v_add_f64_e32 v[3:4], v[3:4], v[7:8]
	global_load_b64 v[7:8], v[1:2], off offset:22528
	;; [unrolled: 3-line block ×118, first 2 shown]
	s_wait_loadcnt 0x8
	v_add_f64_e32 v[3:4], v[7:8], v[3:4]
	s_wait_loadcnt 0x7
	s_delay_alu instid0(VALU_DEP_1) | instskip(SKIP_1) | instid1(VALU_DEP_1)
	v_add_f64_e32 v[3:4], v[9:10], v[3:4]
	s_wait_loadcnt 0x6
	v_add_f64_e32 v[3:4], v[11:12], v[3:4]
	s_wait_loadcnt 0x5
	s_delay_alu instid0(VALU_DEP_1) | instskip(SKIP_1) | instid1(VALU_DEP_1)
	v_add_f64_e32 v[3:4], v[13:14], v[3:4]
	;; [unrolled: 5-line block ×4, first 2 shown]
	s_wait_loadcnt 0x0
	v_add_f64_e32 v[3:4], v[5:6], v[3:4]
	s_delay_alu instid0(VALU_DEP_1) | instskip(NEXT) | instid1(VALU_DEP_2)
	v_mov_b32_dpp v5, v3 quad_perm:[1,0,3,2] row_mask:0xf bank_mask:0xf
	v_mov_b32_dpp v6, v4 quad_perm:[1,0,3,2] row_mask:0xf bank_mask:0xf
	s_delay_alu instid0(VALU_DEP_1) | instskip(NEXT) | instid1(VALU_DEP_1)
	v_add_f64_e32 v[3:4], v[3:4], v[5:6]
	v_mov_b32_dpp v5, v3 quad_perm:[2,3,0,1] row_mask:0xf bank_mask:0xf
	s_delay_alu instid0(VALU_DEP_2) | instskip(NEXT) | instid1(VALU_DEP_1)
	v_mov_b32_dpp v6, v4 quad_perm:[2,3,0,1] row_mask:0xf bank_mask:0xf
	v_add_f64_e32 v[3:4], v[3:4], v[5:6]
	s_delay_alu instid0(VALU_DEP_1) | instskip(NEXT) | instid1(VALU_DEP_2)
	v_mov_b32_dpp v5, v3 row_ror:4 row_mask:0xf bank_mask:0xf
	v_mov_b32_dpp v6, v4 row_ror:4 row_mask:0xf bank_mask:0xf
	s_delay_alu instid0(VALU_DEP_1) | instskip(NEXT) | instid1(VALU_DEP_1)
	v_add_f64_e32 v[3:4], v[3:4], v[5:6]
	v_mov_b32_dpp v5, v3 row_ror:8 row_mask:0xf bank_mask:0xf
	s_delay_alu instid0(VALU_DEP_2) | instskip(NEXT) | instid1(VALU_DEP_1)
	v_mov_b32_dpp v6, v4 row_ror:8 row_mask:0xf bank_mask:0xf
	v_add_f64_e32 v[3:4], v[3:4], v[5:6]
	ds_swizzle_b32 v5, v3 offset:swizzle(BROADCAST,32,15)
	ds_swizzle_b32 v6, v4 offset:swizzle(BROADCAST,32,15)
	s_wait_dscnt 0x0
	v_add_f64_e32 v[3:4], v[3:4], v[5:6]
	v_mov_b32_e32 v5, 0
	ds_bpermute_b32 v3, v5, v3 offset:124
	ds_bpermute_b32 v4, v5, v4 offset:124
	v_cmpx_eq_u32_e32 0, v253
	s_cbranch_execz .LBB6_3
; %bb.2:
	v_lshrrev_b32_e32 v5, 2, v0
	s_delay_alu instid0(VALU_DEP_1)
	v_and_b32_e32 v5, 56, v5
	s_wait_dscnt 0x0
	ds_store_b64 v5, v[3:4]
.LBB6_3:
	s_wait_alu 0xfffe
	s_or_b32 exec_lo, exec_lo, s1
	s_delay_alu instid0(SALU_CYCLE_1)
	s_mov_b32 s1, exec_lo
	global_wb scope:SCOPE_SE
	s_wait_dscnt 0x0
	s_barrier_signal -1
	s_barrier_wait -1
	global_inv scope:SCOPE_SE
	v_cmpx_gt_u32_e32 32, v0
	s_cbranch_execz .LBB6_5
; %bb.4:
	v_and_b32_e32 v7, 7, v253
	s_delay_alu instid0(VALU_DEP_1) | instskip(SKIP_4) | instid1(VALU_DEP_2)
	v_lshlrev_b32_e32 v3, 3, v7
	v_cmp_ne_u32_e32 vcc_lo, 7, v7
	ds_load_b64 v[3:4], v3
	v_add_co_ci_u32_e32 v5, vcc_lo, 0, v253, vcc_lo
	v_cmp_gt_u32_e32 vcc_lo, 6, v7
	v_lshlrev_b32_e32 v6, 2, v5
	s_wait_dscnt 0x0
	ds_bpermute_b32 v5, v6, v3
	ds_bpermute_b32 v6, v6, v4
	s_wait_dscnt 0x0
	v_add_f64_e32 v[3:4], v[3:4], v[5:6]
	s_wait_alu 0xfffd
	v_cndmask_b32_e64 v5, 0, 1, vcc_lo
	v_cmp_gt_u32_e32 vcc_lo, 4, v7
	s_delay_alu instid0(VALU_DEP_2) | instskip(NEXT) | instid1(VALU_DEP_1)
	v_lshlrev_b32_e32 v5, 1, v5
	v_add_lshl_u32 v6, v5, v253, 2
	ds_bpermute_b32 v5, v6, v3
	ds_bpermute_b32 v6, v6, v4
	s_wait_dscnt 0x0
	v_add_f64_e32 v[3:4], v[3:4], v[5:6]
	s_wait_alu 0xfffd
	v_cndmask_b32_e64 v5, 0, 1, vcc_lo
	s_delay_alu instid0(VALU_DEP_1) | instskip(NEXT) | instid1(VALU_DEP_1)
	v_lshlrev_b32_e32 v5, 2, v5
	v_add_lshl_u32 v6, v5, v253, 2
	ds_bpermute_b32 v5, v6, v3
	ds_bpermute_b32 v6, v6, v4
	s_wait_dscnt 0x0
	v_add_f64_e32 v[3:4], v[3:4], v[5:6]
.LBB6_5:
	s_wait_alu 0xfffe
	s_or_b32 exec_lo, exec_lo, s1
	s_branch .LBB6_284
.LBB6_6:
                                        ; implicit-def: $vgpr3_vgpr4
	s_cbranch_execz .LBB6_284
; %bb.7:
	s_delay_alu instid0(VALU_DEP_1)
	v_readlane_b32 s4, v254, 0
	v_readlane_b32 s6, v254, 2
	;; [unrolled: 1-line block ×6, first 2 shown]
	s_sub_co_i32 s22, s6, s0
	s_mov_b32 s0, exec_lo
	v_readlane_b32 s10, v254, 6
	v_readlane_b32 s11, v254, 7
                                        ; implicit-def: $vgpr3_vgpr4
	v_cmpx_gt_u32_e64 s22, v0
	s_cbranch_execz .LBB6_9
; %bb.8:
	global_load_b64 v[3:4], v[1:2], off
.LBB6_9:
	s_wait_alu 0xfffe
	s_or_b32 exec_lo, exec_lo, s0
	v_or_b32_e32 v5, 0x100, v0
	s_delay_alu instid0(VALU_DEP_1) | instskip(SKIP_1) | instid1(VALU_DEP_1)
	v_cmp_gt_u32_e64 s1, s22, v5
                                        ; implicit-def: $vgpr5_vgpr6
                                        ; kill: killed $vgpr5_vgpr6
	s_wait_alu 0xf1ff
	v_writelane_b32 v254, s1, 8
	s_and_saveexec_b32 s0, s1
	s_cbranch_execz .LBB6_11
; %bb.10:
	global_load_b64 v[5:6], v[1:2], off offset:2048
	s_wait_loadcnt 0x0
	scratch_store_b64 off, v[5:6], off      ; 8-byte Folded Spill
.LBB6_11:
	s_wait_alu 0xfffe
	s_or_b32 exec_lo, exec_lo, s0
	v_or_b32_e32 v5, 0x200, v0
	s_delay_alu instid0(VALU_DEP_1) | instskip(SKIP_1) | instid1(VALU_DEP_1)
	v_cmp_gt_u32_e64 s1, s22, v5
                                        ; implicit-def: $vgpr5_vgpr6
                                        ; kill: killed $vgpr5_vgpr6
	s_wait_alu 0xf1ff
	v_writelane_b32 v254, s1, 9
	s_and_saveexec_b32 s0, s1
	s_cbranch_execz .LBB6_13
; %bb.12:
	global_load_b64 v[5:6], v[1:2], off offset:4096
	s_wait_loadcnt 0x0
	scratch_store_b64 off, v[5:6], off offset:8 ; 8-byte Folded Spill
.LBB6_13:
	s_wait_alu 0xfffe
	s_or_b32 exec_lo, exec_lo, s0
	v_or_b32_e32 v5, 0x300, v0
	s_delay_alu instid0(VALU_DEP_1) | instskip(SKIP_1) | instid1(VALU_DEP_1)
	v_cmp_gt_u32_e64 s1, s22, v5
                                        ; implicit-def: $vgpr5_vgpr6
                                        ; kill: killed $vgpr5_vgpr6
	s_wait_alu 0xf1ff
	v_writelane_b32 v254, s1, 10
	s_and_saveexec_b32 s0, s1
	s_cbranch_execz .LBB6_15
; %bb.14:
	global_load_b64 v[5:6], v[1:2], off offset:6144
	s_wait_loadcnt 0x0
	scratch_store_b64 off, v[5:6], off offset:16 ; 8-byte Folded Spill
.LBB6_15:
	s_wait_alu 0xfffe
	s_or_b32 exec_lo, exec_lo, s0
	v_or_b32_e32 v5, 0x400, v0
                                        ; implicit-def: $vgpr11_vgpr12
	s_delay_alu instid0(VALU_DEP_1) | instskip(SKIP_1) | instid1(VALU_DEP_1)
	v_cmp_gt_u32_e64 s1, s22, v5
	s_wait_alu 0xf1ff
	v_writelane_b32 v254, s1, 11
	s_and_saveexec_b32 s0, s1
	s_cbranch_execz .LBB6_17
; %bb.16:
	global_load_b64 v[11:12], v[1:2], off offset:8192
.LBB6_17:
	s_wait_alu 0xfffe
	s_or_b32 exec_lo, exec_lo, s0
	v_or_b32_e32 v5, 0x500, v0
                                        ; implicit-def: $vgpr13_vgpr14
	s_delay_alu instid0(VALU_DEP_1) | instskip(SKIP_1) | instid1(VALU_DEP_1)
	v_cmp_gt_u32_e64 s1, s22, v5
	s_wait_alu 0xf1ff
	v_writelane_b32 v254, s1, 12
	s_and_saveexec_b32 s0, s1
	s_cbranch_execz .LBB6_19
; %bb.18:
	global_load_b64 v[13:14], v[1:2], off offset:10240
.LBB6_19:
	s_wait_alu 0xfffe
	s_or_b32 exec_lo, exec_lo, s0
	v_or_b32_e32 v5, 0x600, v0
                                        ; implicit-def: $vgpr15_vgpr16
	s_delay_alu instid0(VALU_DEP_1) | instskip(SKIP_1) | instid1(VALU_DEP_1)
	v_cmp_gt_u32_e64 s1, s22, v5
	s_wait_alu 0xf1ff
	v_writelane_b32 v254, s1, 13
	s_and_saveexec_b32 s0, s1
	s_cbranch_execz .LBB6_21
; %bb.20:
	global_load_b64 v[15:16], v[1:2], off offset:12288
.LBB6_21:
	s_wait_alu 0xfffe
	s_or_b32 exec_lo, exec_lo, s0
	v_or_b32_e32 v5, 0x700, v0
                                        ; implicit-def: $vgpr17_vgpr18
	s_delay_alu instid0(VALU_DEP_1) | instskip(SKIP_1) | instid1(VALU_DEP_1)
	v_cmp_gt_u32_e64 s1, s22, v5
	s_wait_alu 0xf1ff
	v_writelane_b32 v254, s1, 14
	s_and_saveexec_b32 s0, s1
	s_cbranch_execz .LBB6_23
; %bb.22:
	global_load_b64 v[17:18], v[1:2], off offset:14336
.LBB6_23:
	s_wait_alu 0xfffe
	s_or_b32 exec_lo, exec_lo, s0
	v_or_b32_e32 v5, 0x800, v0
                                        ; implicit-def: $vgpr19_vgpr20
	s_delay_alu instid0(VALU_DEP_1) | instskip(SKIP_1) | instid1(VALU_DEP_1)
	v_cmp_gt_u32_e64 s1, s22, v5
	s_wait_alu 0xf1ff
	v_writelane_b32 v254, s1, 15
	s_and_saveexec_b32 s0, s1
	s_cbranch_execz .LBB6_25
; %bb.24:
	global_load_b64 v[19:20], v[1:2], off offset:16384
.LBB6_25:
	s_wait_alu 0xfffe
	s_or_b32 exec_lo, exec_lo, s0
	v_or_b32_e32 v5, 0x900, v0
                                        ; implicit-def: $vgpr21_vgpr22
	s_delay_alu instid0(VALU_DEP_1) | instskip(SKIP_1) | instid1(VALU_DEP_1)
	v_cmp_gt_u32_e64 s1, s22, v5
	s_wait_alu 0xf1ff
	v_writelane_b32 v254, s1, 16
	s_and_saveexec_b32 s0, s1
	s_cbranch_execz .LBB6_27
; %bb.26:
	global_load_b64 v[21:22], v[1:2], off offset:18432
.LBB6_27:
	s_wait_alu 0xfffe
	s_or_b32 exec_lo, exec_lo, s0
	v_or_b32_e32 v5, 0xa00, v0
                                        ; implicit-def: $vgpr23_vgpr24
	s_delay_alu instid0(VALU_DEP_1) | instskip(SKIP_1) | instid1(VALU_DEP_1)
	v_cmp_gt_u32_e64 s1, s22, v5
	s_wait_alu 0xf1ff
	v_writelane_b32 v254, s1, 17
	s_and_saveexec_b32 s0, s1
	s_cbranch_execz .LBB6_29
; %bb.28:
	global_load_b64 v[23:24], v[1:2], off offset:20480
.LBB6_29:
	s_wait_alu 0xfffe
	s_or_b32 exec_lo, exec_lo, s0
	v_or_b32_e32 v5, 0xb00, v0
                                        ; implicit-def: $vgpr25_vgpr26
	s_delay_alu instid0(VALU_DEP_1) | instskip(SKIP_1) | instid1(VALU_DEP_1)
	v_cmp_gt_u32_e64 s1, s22, v5
	s_wait_alu 0xf1ff
	v_writelane_b32 v254, s1, 18
	s_and_saveexec_b32 s0, s1
	s_cbranch_execz .LBB6_31
; %bb.30:
	global_load_b64 v[25:26], v[1:2], off offset:22528
.LBB6_31:
	s_wait_alu 0xfffe
	s_or_b32 exec_lo, exec_lo, s0
	v_or_b32_e32 v5, 0xc00, v0
                                        ; implicit-def: $vgpr27_vgpr28
	s_delay_alu instid0(VALU_DEP_1) | instskip(SKIP_1) | instid1(VALU_DEP_1)
	v_cmp_gt_u32_e64 s1, s22, v5
	s_wait_alu 0xf1ff
	v_writelane_b32 v254, s1, 19
	s_and_saveexec_b32 s0, s1
	s_cbranch_execz .LBB6_33
; %bb.32:
	global_load_b64 v[27:28], v[1:2], off offset:24576
.LBB6_33:
	s_wait_alu 0xfffe
	s_or_b32 exec_lo, exec_lo, s0
	v_or_b32_e32 v5, 0xd00, v0
                                        ; implicit-def: $vgpr29_vgpr30
	s_delay_alu instid0(VALU_DEP_1) | instskip(SKIP_1) | instid1(VALU_DEP_1)
	v_cmp_gt_u32_e64 s1, s22, v5
	s_wait_alu 0xf1ff
	v_writelane_b32 v254, s1, 20
	s_and_saveexec_b32 s0, s1
	s_cbranch_execz .LBB6_35
; %bb.34:
	global_load_b64 v[29:30], v[1:2], off offset:26624
.LBB6_35:
	s_wait_alu 0xfffe
	s_or_b32 exec_lo, exec_lo, s0
	v_or_b32_e32 v5, 0xe00, v0
                                        ; implicit-def: $vgpr31_vgpr32
	s_delay_alu instid0(VALU_DEP_1) | instskip(SKIP_1) | instid1(VALU_DEP_1)
	v_cmp_gt_u32_e64 s1, s22, v5
	s_wait_alu 0xf1ff
	v_writelane_b32 v254, s1, 21
	s_and_saveexec_b32 s0, s1
	s_cbranch_execz .LBB6_37
; %bb.36:
	global_load_b64 v[31:32], v[1:2], off offset:28672
.LBB6_37:
	s_wait_alu 0xfffe
	s_or_b32 exec_lo, exec_lo, s0
	v_or_b32_e32 v5, 0xf00, v0
                                        ; implicit-def: $vgpr33_vgpr34
	s_delay_alu instid0(VALU_DEP_1) | instskip(SKIP_1) | instid1(VALU_DEP_1)
	v_cmp_gt_u32_e64 s1, s22, v5
	s_wait_alu 0xf1ff
	v_writelane_b32 v254, s1, 22
	s_and_saveexec_b32 s0, s1
	s_cbranch_execz .LBB6_39
; %bb.38:
	global_load_b64 v[33:34], v[1:2], off offset:30720
.LBB6_39:
	s_wait_alu 0xfffe
	s_or_b32 exec_lo, exec_lo, s0
	v_or_b32_e32 v5, 0x1000, v0
                                        ; implicit-def: $vgpr35_vgpr36
	s_delay_alu instid0(VALU_DEP_1) | instskip(SKIP_1) | instid1(VALU_DEP_1)
	v_cmp_gt_u32_e64 s1, s22, v5
	s_wait_alu 0xf1ff
	v_writelane_b32 v254, s1, 23
	s_and_saveexec_b32 s0, s1
	s_cbranch_execz .LBB6_41
; %bb.40:
	global_load_b64 v[35:36], v[1:2], off offset:32768
.LBB6_41:
	s_wait_alu 0xfffe
	s_or_b32 exec_lo, exec_lo, s0
	v_or_b32_e32 v5, 0x1100, v0
                                        ; implicit-def: $vgpr37_vgpr38
	s_delay_alu instid0(VALU_DEP_1) | instskip(SKIP_1) | instid1(VALU_DEP_1)
	v_cmp_gt_u32_e64 s1, s22, v5
	s_wait_alu 0xf1ff
	v_writelane_b32 v254, s1, 24
	s_and_saveexec_b32 s0, s1
	s_cbranch_execz .LBB6_43
; %bb.42:
	global_load_b64 v[37:38], v[1:2], off offset:34816
.LBB6_43:
	s_wait_alu 0xfffe
	s_or_b32 exec_lo, exec_lo, s0
	v_or_b32_e32 v5, 0x1200, v0
                                        ; implicit-def: $vgpr39_vgpr40
	s_delay_alu instid0(VALU_DEP_1) | instskip(SKIP_1) | instid1(VALU_DEP_1)
	v_cmp_gt_u32_e64 s1, s22, v5
	s_wait_alu 0xf1ff
	v_writelane_b32 v254, s1, 25
	s_and_saveexec_b32 s0, s1
	s_cbranch_execz .LBB6_45
; %bb.44:
	global_load_b64 v[39:40], v[1:2], off offset:36864
.LBB6_45:
	s_wait_alu 0xfffe
	s_or_b32 exec_lo, exec_lo, s0
	v_or_b32_e32 v5, 0x1300, v0
                                        ; implicit-def: $vgpr41_vgpr42
	s_delay_alu instid0(VALU_DEP_1) | instskip(SKIP_1) | instid1(VALU_DEP_1)
	v_cmp_gt_u32_e64 s1, s22, v5
	s_wait_alu 0xf1ff
	v_writelane_b32 v254, s1, 26
	s_and_saveexec_b32 s0, s1
	s_cbranch_execz .LBB6_47
; %bb.46:
	global_load_b64 v[41:42], v[1:2], off offset:38912
.LBB6_47:
	s_wait_alu 0xfffe
	s_or_b32 exec_lo, exec_lo, s0
	v_or_b32_e32 v5, 0x1400, v0
                                        ; implicit-def: $vgpr43_vgpr44
	s_delay_alu instid0(VALU_DEP_1) | instskip(SKIP_1) | instid1(VALU_DEP_1)
	v_cmp_gt_u32_e64 s1, s22, v5
	s_wait_alu 0xf1ff
	v_writelane_b32 v254, s1, 27
	s_and_saveexec_b32 s0, s1
	s_cbranch_execz .LBB6_49
; %bb.48:
	global_load_b64 v[43:44], v[1:2], off offset:40960
.LBB6_49:
	s_wait_alu 0xfffe
	s_or_b32 exec_lo, exec_lo, s0
	v_or_b32_e32 v5, 0x1500, v0
                                        ; implicit-def: $vgpr45_vgpr46
	s_delay_alu instid0(VALU_DEP_1) | instskip(SKIP_1) | instid1(VALU_DEP_1)
	v_cmp_gt_u32_e64 s1, s22, v5
	s_wait_alu 0xf1ff
	v_writelane_b32 v254, s1, 28
	s_and_saveexec_b32 s0, s1
	s_cbranch_execz .LBB6_51
; %bb.50:
	global_load_b64 v[45:46], v[1:2], off offset:43008
.LBB6_51:
	s_wait_alu 0xfffe
	s_or_b32 exec_lo, exec_lo, s0
	v_or_b32_e32 v5, 0x1600, v0
                                        ; implicit-def: $vgpr47_vgpr48
	s_delay_alu instid0(VALU_DEP_1) | instskip(SKIP_1) | instid1(VALU_DEP_1)
	v_cmp_gt_u32_e64 s1, s22, v5
	s_wait_alu 0xf1ff
	v_writelane_b32 v254, s1, 29
	s_and_saveexec_b32 s0, s1
	s_cbranch_execz .LBB6_53
; %bb.52:
	global_load_b64 v[47:48], v[1:2], off offset:45056
.LBB6_53:
	s_wait_alu 0xfffe
	s_or_b32 exec_lo, exec_lo, s0
	v_or_b32_e32 v5, 0x1700, v0
                                        ; implicit-def: $vgpr49_vgpr50
	s_delay_alu instid0(VALU_DEP_1) | instskip(SKIP_1) | instid1(VALU_DEP_1)
	v_cmp_gt_u32_e64 s1, s22, v5
	s_wait_alu 0xf1ff
	v_writelane_b32 v254, s1, 30
	s_and_saveexec_b32 s0, s1
	s_cbranch_execz .LBB6_55
; %bb.54:
	global_load_b64 v[49:50], v[1:2], off offset:47104
.LBB6_55:
	s_wait_alu 0xfffe
	s_or_b32 exec_lo, exec_lo, s0
	v_or_b32_e32 v5, 0x1800, v0
                                        ; implicit-def: $vgpr51_vgpr52
	s_delay_alu instid0(VALU_DEP_1) | instskip(SKIP_1) | instid1(VALU_DEP_1)
	v_cmp_gt_u32_e64 s1, s22, v5
	s_wait_alu 0xf1ff
	v_writelane_b32 v254, s1, 31
	s_and_saveexec_b32 s0, s1
	s_cbranch_execz .LBB6_57
; %bb.56:
	global_load_b64 v[51:52], v[1:2], off offset:49152
.LBB6_57:
	s_wait_alu 0xfffe
	s_or_b32 exec_lo, exec_lo, s0
	v_or_b32_e32 v5, 0x1900, v0
                                        ; implicit-def: $vgpr255 : SGPR spill to VGPR lane
                                        ; implicit-def: $vgpr53_vgpr54
	s_delay_alu instid0(VALU_DEP_1) | instskip(SKIP_1) | instid1(VALU_DEP_1)
	v_cmp_gt_u32_e64 s1, s22, v5
	s_wait_alu 0xf1ff
	v_writelane_b32 v255, s1, 0
	s_and_saveexec_b32 s0, s1
	s_cbranch_execz .LBB6_59
; %bb.58:
	global_load_b64 v[53:54], v[1:2], off offset:51200
.LBB6_59:
	s_wait_alu 0xfffe
	s_or_b32 exec_lo, exec_lo, s0
	v_or_b32_e32 v5, 0x1a00, v0
                                        ; implicit-def: $vgpr55_vgpr56
	s_delay_alu instid0(VALU_DEP_1) | instskip(SKIP_1) | instid1(VALU_DEP_1)
	v_cmp_gt_u32_e64 s1, s22, v5
	s_wait_alu 0xf1ff
	v_writelane_b32 v255, s1, 1
	s_and_saveexec_b32 s0, s1
	s_cbranch_execz .LBB6_61
; %bb.60:
	global_load_b64 v[55:56], v[1:2], off offset:53248
.LBB6_61:
	s_wait_alu 0xfffe
	s_or_b32 exec_lo, exec_lo, s0
	v_or_b32_e32 v5, 0x1b00, v0
                                        ; implicit-def: $vgpr57_vgpr58
	s_delay_alu instid0(VALU_DEP_1) | instskip(NEXT) | instid1(VALU_DEP_1)
	v_cmp_gt_u32_e64 s25, s22, v5
	s_and_saveexec_b32 s0, s25
	s_cbranch_execz .LBB6_63
; %bb.62:
	global_load_b64 v[57:58], v[1:2], off offset:55296
.LBB6_63:
	s_wait_alu 0xfffe
	s_or_b32 exec_lo, exec_lo, s0
	v_or_b32_e32 v5, 0x1c00, v0
                                        ; implicit-def: $vgpr59_vgpr60
	s_delay_alu instid0(VALU_DEP_1) | instskip(NEXT) | instid1(VALU_DEP_1)
	v_cmp_gt_u32_e64 s26, s22, v5
	s_and_saveexec_b32 s0, s26
	s_cbranch_execz .LBB6_65
; %bb.64:
	global_load_b64 v[59:60], v[1:2], off offset:57344
.LBB6_65:
	s_wait_alu 0xfffe
	s_or_b32 exec_lo, exec_lo, s0
	v_or_b32_e32 v5, 0x1d00, v0
                                        ; implicit-def: $vgpr61_vgpr62
	s_delay_alu instid0(VALU_DEP_1) | instskip(NEXT) | instid1(VALU_DEP_1)
	v_cmp_gt_u32_e64 s27, s22, v5
	s_and_saveexec_b32 s0, s27
	s_cbranch_execz .LBB6_67
; %bb.66:
	global_load_b64 v[61:62], v[1:2], off offset:59392
.LBB6_67:
	s_wait_alu 0xfffe
	s_or_b32 exec_lo, exec_lo, s0
	v_or_b32_e32 v5, 0x1e00, v0
                                        ; implicit-def: $vgpr63_vgpr64
	s_delay_alu instid0(VALU_DEP_1) | instskip(NEXT) | instid1(VALU_DEP_1)
	v_cmp_gt_u32_e64 s28, s22, v5
	s_and_saveexec_b32 s0, s28
	s_cbranch_execz .LBB6_69
; %bb.68:
	global_load_b64 v[63:64], v[1:2], off offset:61440
.LBB6_69:
	s_wait_alu 0xfffe
	s_or_b32 exec_lo, exec_lo, s0
	v_or_b32_e32 v5, 0x1f00, v0
                                        ; implicit-def: $vgpr65_vgpr66
	s_delay_alu instid0(VALU_DEP_1) | instskip(NEXT) | instid1(VALU_DEP_1)
	v_cmp_gt_u32_e64 s29, s22, v5
	s_and_saveexec_b32 s0, s29
	s_cbranch_execz .LBB6_71
; %bb.70:
	global_load_b64 v[65:66], v[1:2], off offset:63488
.LBB6_71:
	s_wait_alu 0xfffe
	s_or_b32 exec_lo, exec_lo, s0
	v_or_b32_e32 v5, 0x2000, v0
                                        ; implicit-def: $vgpr67_vgpr68
	s_delay_alu instid0(VALU_DEP_1) | instskip(NEXT) | instid1(VALU_DEP_1)
	v_cmp_gt_u32_e64 s30, s22, v5
	s_and_saveexec_b32 s0, s30
	s_cbranch_execz .LBB6_73
; %bb.72:
	global_load_b64 v[67:68], v[1:2], off offset:65536
.LBB6_73:
	s_wait_alu 0xfffe
	s_or_b32 exec_lo, exec_lo, s0
	v_or_b32_e32 v5, 0x2100, v0
                                        ; implicit-def: $vgpr69_vgpr70
	s_delay_alu instid0(VALU_DEP_1) | instskip(NEXT) | instid1(VALU_DEP_1)
	v_cmp_gt_u32_e64 s31, s22, v5
	s_and_saveexec_b32 s0, s31
	s_cbranch_execz .LBB6_75
; %bb.74:
	global_load_b64 v[69:70], v[1:2], off offset:67584
.LBB6_75:
	s_wait_alu 0xfffe
	s_or_b32 exec_lo, exec_lo, s0
	v_or_b32_e32 v5, 0x2200, v0
                                        ; implicit-def: $vgpr71_vgpr72
	s_delay_alu instid0(VALU_DEP_1) | instskip(NEXT) | instid1(VALU_DEP_1)
	v_cmp_gt_u32_e64 s33, s22, v5
	s_and_saveexec_b32 s0, s33
	s_cbranch_execz .LBB6_77
; %bb.76:
	global_load_b64 v[71:72], v[1:2], off offset:69632
.LBB6_77:
	s_wait_alu 0xfffe
	s_or_b32 exec_lo, exec_lo, s0
	v_or_b32_e32 v5, 0x2300, v0
                                        ; implicit-def: $vgpr73_vgpr74
	s_delay_alu instid0(VALU_DEP_1) | instskip(NEXT) | instid1(VALU_DEP_1)
	v_cmp_gt_u32_e64 s34, s22, v5
	s_and_saveexec_b32 s0, s34
	s_cbranch_execz .LBB6_79
; %bb.78:
	global_load_b64 v[73:74], v[1:2], off offset:71680
.LBB6_79:
	s_wait_alu 0xfffe
	s_or_b32 exec_lo, exec_lo, s0
	v_or_b32_e32 v5, 0x2400, v0
                                        ; implicit-def: $vgpr75_vgpr76
	s_delay_alu instid0(VALU_DEP_1) | instskip(NEXT) | instid1(VALU_DEP_1)
	v_cmp_gt_u32_e64 s35, s22, v5
	s_and_saveexec_b32 s0, s35
	s_cbranch_execz .LBB6_81
; %bb.80:
	global_load_b64 v[75:76], v[1:2], off offset:73728
.LBB6_81:
	s_wait_alu 0xfffe
	s_or_b32 exec_lo, exec_lo, s0
	v_or_b32_e32 v5, 0x2500, v0
                                        ; implicit-def: $vgpr77_vgpr78
	s_delay_alu instid0(VALU_DEP_1) | instskip(NEXT) | instid1(VALU_DEP_1)
	v_cmp_gt_u32_e64 s36, s22, v5
	s_and_saveexec_b32 s0, s36
	s_cbranch_execz .LBB6_83
; %bb.82:
	global_load_b64 v[77:78], v[1:2], off offset:75776
.LBB6_83:
	s_wait_alu 0xfffe
	s_or_b32 exec_lo, exec_lo, s0
	v_or_b32_e32 v5, 0x2600, v0
                                        ; implicit-def: $vgpr79_vgpr80
	s_delay_alu instid0(VALU_DEP_1) | instskip(NEXT) | instid1(VALU_DEP_1)
	v_cmp_gt_u32_e64 s37, s22, v5
	s_and_saveexec_b32 s0, s37
	s_cbranch_execz .LBB6_85
; %bb.84:
	global_load_b64 v[79:80], v[1:2], off offset:77824
.LBB6_85:
	s_wait_alu 0xfffe
	s_or_b32 exec_lo, exec_lo, s0
	v_or_b32_e32 v5, 0x2700, v0
                                        ; implicit-def: $vgpr81_vgpr82
	s_delay_alu instid0(VALU_DEP_1) | instskip(NEXT) | instid1(VALU_DEP_1)
	v_cmp_gt_u32_e64 s38, s22, v5
	s_and_saveexec_b32 s0, s38
	s_cbranch_execz .LBB6_87
; %bb.86:
	global_load_b64 v[81:82], v[1:2], off offset:79872
.LBB6_87:
	s_wait_alu 0xfffe
	s_or_b32 exec_lo, exec_lo, s0
	v_or_b32_e32 v5, 0x2800, v0
                                        ; implicit-def: $vgpr83_vgpr84
	s_delay_alu instid0(VALU_DEP_1) | instskip(NEXT) | instid1(VALU_DEP_1)
	v_cmp_gt_u32_e64 s39, s22, v5
	s_and_saveexec_b32 s0, s39
	s_cbranch_execz .LBB6_89
; %bb.88:
	global_load_b64 v[83:84], v[1:2], off offset:81920
.LBB6_89:
	s_wait_alu 0xfffe
	s_or_b32 exec_lo, exec_lo, s0
	v_or_b32_e32 v5, 0x2900, v0
                                        ; implicit-def: $vgpr85_vgpr86
	s_delay_alu instid0(VALU_DEP_1) | instskip(NEXT) | instid1(VALU_DEP_1)
	v_cmp_gt_u32_e64 s40, s22, v5
	s_and_saveexec_b32 s0, s40
	s_cbranch_execz .LBB6_91
; %bb.90:
	global_load_b64 v[85:86], v[1:2], off offset:83968
.LBB6_91:
	s_wait_alu 0xfffe
	s_or_b32 exec_lo, exec_lo, s0
	v_or_b32_e32 v5, 0x2a00, v0
                                        ; implicit-def: $vgpr87_vgpr88
	s_delay_alu instid0(VALU_DEP_1) | instskip(NEXT) | instid1(VALU_DEP_1)
	v_cmp_gt_u32_e64 s41, s22, v5
	s_and_saveexec_b32 s0, s41
	s_cbranch_execz .LBB6_93
; %bb.92:
	global_load_b64 v[87:88], v[1:2], off offset:86016
.LBB6_93:
	s_wait_alu 0xfffe
	s_or_b32 exec_lo, exec_lo, s0
	v_or_b32_e32 v5, 0x2b00, v0
                                        ; implicit-def: $vgpr89_vgpr90
	s_delay_alu instid0(VALU_DEP_1) | instskip(NEXT) | instid1(VALU_DEP_1)
	v_cmp_gt_u32_e64 s42, s22, v5
	s_and_saveexec_b32 s0, s42
	s_cbranch_execz .LBB6_95
; %bb.94:
	global_load_b64 v[89:90], v[1:2], off offset:88064
.LBB6_95:
	s_wait_alu 0xfffe
	s_or_b32 exec_lo, exec_lo, s0
	v_or_b32_e32 v5, 0x2c00, v0
                                        ; implicit-def: $vgpr91_vgpr92
	s_delay_alu instid0(VALU_DEP_1) | instskip(NEXT) | instid1(VALU_DEP_1)
	v_cmp_gt_u32_e64 s43, s22, v5
	s_and_saveexec_b32 s0, s43
	s_cbranch_execz .LBB6_97
; %bb.96:
	global_load_b64 v[91:92], v[1:2], off offset:90112
.LBB6_97:
	s_wait_alu 0xfffe
	s_or_b32 exec_lo, exec_lo, s0
	v_or_b32_e32 v5, 0x2d00, v0
                                        ; implicit-def: $vgpr93_vgpr94
	s_delay_alu instid0(VALU_DEP_1) | instskip(NEXT) | instid1(VALU_DEP_1)
	v_cmp_gt_u32_e64 s44, s22, v5
	s_and_saveexec_b32 s0, s44
	s_cbranch_execz .LBB6_99
; %bb.98:
	global_load_b64 v[93:94], v[1:2], off offset:92160
.LBB6_99:
	s_wait_alu 0xfffe
	s_or_b32 exec_lo, exec_lo, s0
	v_or_b32_e32 v5, 0x2e00, v0
                                        ; implicit-def: $vgpr95_vgpr96
	s_delay_alu instid0(VALU_DEP_1) | instskip(NEXT) | instid1(VALU_DEP_1)
	v_cmp_gt_u32_e64 s45, s22, v5
	s_and_saveexec_b32 s0, s45
	s_cbranch_execz .LBB6_101
; %bb.100:
	global_load_b64 v[95:96], v[1:2], off offset:94208
.LBB6_101:
	s_wait_alu 0xfffe
	s_or_b32 exec_lo, exec_lo, s0
	v_or_b32_e32 v5, 0x2f00, v0
                                        ; implicit-def: $vgpr97_vgpr98
	s_delay_alu instid0(VALU_DEP_1) | instskip(NEXT) | instid1(VALU_DEP_1)
	v_cmp_gt_u32_e64 s46, s22, v5
	s_and_saveexec_b32 s0, s46
	s_cbranch_execz .LBB6_103
; %bb.102:
	global_load_b64 v[97:98], v[1:2], off offset:96256
.LBB6_103:
	s_wait_alu 0xfffe
	s_or_b32 exec_lo, exec_lo, s0
	v_or_b32_e32 v5, 0x3000, v0
                                        ; implicit-def: $vgpr99_vgpr100
	s_delay_alu instid0(VALU_DEP_1) | instskip(NEXT) | instid1(VALU_DEP_1)
	v_cmp_gt_u32_e64 s47, s22, v5
	s_and_saveexec_b32 s0, s47
	s_cbranch_execz .LBB6_105
; %bb.104:
	global_load_b64 v[99:100], v[1:2], off offset:98304
.LBB6_105:
	s_wait_alu 0xfffe
	s_or_b32 exec_lo, exec_lo, s0
	v_or_b32_e32 v5, 0x3100, v0
                                        ; implicit-def: $vgpr101_vgpr102
	s_delay_alu instid0(VALU_DEP_1) | instskip(NEXT) | instid1(VALU_DEP_1)
	v_cmp_gt_u32_e64 s48, s22, v5
	s_and_saveexec_b32 s0, s48
	s_cbranch_execz .LBB6_107
; %bb.106:
	global_load_b64 v[101:102], v[1:2], off offset:100352
.LBB6_107:
	s_wait_alu 0xfffe
	s_or_b32 exec_lo, exec_lo, s0
	v_or_b32_e32 v5, 0x3200, v0
                                        ; implicit-def: $vgpr103_vgpr104
	s_delay_alu instid0(VALU_DEP_1) | instskip(NEXT) | instid1(VALU_DEP_1)
	v_cmp_gt_u32_e64 s49, s22, v5
	s_and_saveexec_b32 s0, s49
	s_cbranch_execz .LBB6_109
; %bb.108:
	global_load_b64 v[103:104], v[1:2], off offset:102400
.LBB6_109:
	s_wait_alu 0xfffe
	s_or_b32 exec_lo, exec_lo, s0
	v_or_b32_e32 v5, 0x3300, v0
                                        ; implicit-def: $vgpr105_vgpr106
	s_delay_alu instid0(VALU_DEP_1) | instskip(NEXT) | instid1(VALU_DEP_1)
	v_cmp_gt_u32_e64 s50, s22, v5
	s_and_saveexec_b32 s0, s50
	s_cbranch_execz .LBB6_111
; %bb.110:
	global_load_b64 v[105:106], v[1:2], off offset:104448
.LBB6_111:
	s_wait_alu 0xfffe
	s_or_b32 exec_lo, exec_lo, s0
	v_or_b32_e32 v5, 0x3400, v0
                                        ; implicit-def: $vgpr107_vgpr108
	s_delay_alu instid0(VALU_DEP_1) | instskip(NEXT) | instid1(VALU_DEP_1)
	v_cmp_gt_u32_e64 s51, s22, v5
	s_and_saveexec_b32 s0, s51
	s_cbranch_execz .LBB6_113
; %bb.112:
	global_load_b64 v[107:108], v[1:2], off offset:106496
.LBB6_113:
	s_wait_alu 0xfffe
	s_or_b32 exec_lo, exec_lo, s0
	v_or_b32_e32 v5, 0x3500, v0
                                        ; implicit-def: $vgpr109_vgpr110
	s_delay_alu instid0(VALU_DEP_1) | instskip(NEXT) | instid1(VALU_DEP_1)
	v_cmp_gt_u32_e64 s52, s22, v5
	s_and_saveexec_b32 s0, s52
	s_cbranch_execz .LBB6_115
; %bb.114:
	global_load_b64 v[109:110], v[1:2], off offset:108544
.LBB6_115:
	s_wait_alu 0xfffe
	s_or_b32 exec_lo, exec_lo, s0
	v_or_b32_e32 v5, 0x3600, v0
                                        ; implicit-def: $vgpr111_vgpr112
	s_delay_alu instid0(VALU_DEP_1) | instskip(NEXT) | instid1(VALU_DEP_1)
	v_cmp_gt_u32_e64 s53, s22, v5
	s_and_saveexec_b32 s0, s53
	s_cbranch_execz .LBB6_117
; %bb.116:
	global_load_b64 v[111:112], v[1:2], off offset:110592
.LBB6_117:
	s_wait_alu 0xfffe
	s_or_b32 exec_lo, exec_lo, s0
	v_or_b32_e32 v5, 0x3700, v0
                                        ; implicit-def: $vgpr113_vgpr114
	s_delay_alu instid0(VALU_DEP_1) | instskip(NEXT) | instid1(VALU_DEP_1)
	v_cmp_gt_u32_e64 s54, s22, v5
	s_and_saveexec_b32 s0, s54
	s_cbranch_execz .LBB6_119
; %bb.118:
	global_load_b64 v[113:114], v[1:2], off offset:112640
.LBB6_119:
	s_wait_alu 0xfffe
	s_or_b32 exec_lo, exec_lo, s0
	v_or_b32_e32 v5, 0x3800, v0
                                        ; implicit-def: $vgpr115_vgpr116
	s_delay_alu instid0(VALU_DEP_1) | instskip(NEXT) | instid1(VALU_DEP_1)
	v_cmp_gt_u32_e64 s55, s22, v5
	s_and_saveexec_b32 s0, s55
	s_cbranch_execz .LBB6_121
; %bb.120:
	global_load_b64 v[115:116], v[1:2], off offset:114688
.LBB6_121:
	s_wait_alu 0xfffe
	s_or_b32 exec_lo, exec_lo, s0
	v_or_b32_e32 v5, 0x3900, v0
                                        ; implicit-def: $vgpr117_vgpr118
	s_delay_alu instid0(VALU_DEP_1) | instskip(NEXT) | instid1(VALU_DEP_1)
	v_cmp_gt_u32_e64 s56, s22, v5
	s_and_saveexec_b32 s0, s56
	s_cbranch_execz .LBB6_123
; %bb.122:
	global_load_b64 v[117:118], v[1:2], off offset:116736
.LBB6_123:
	s_wait_alu 0xfffe
	s_or_b32 exec_lo, exec_lo, s0
	v_or_b32_e32 v5, 0x3a00, v0
                                        ; implicit-def: $vgpr119_vgpr120
	s_delay_alu instid0(VALU_DEP_1) | instskip(NEXT) | instid1(VALU_DEP_1)
	v_cmp_gt_u32_e64 s57, s22, v5
	s_and_saveexec_b32 s0, s57
	s_cbranch_execz .LBB6_125
; %bb.124:
	global_load_b64 v[119:120], v[1:2], off offset:118784
.LBB6_125:
	s_wait_alu 0xfffe
	s_or_b32 exec_lo, exec_lo, s0
	v_or_b32_e32 v5, 0x3b00, v0
                                        ; implicit-def: $vgpr121_vgpr122
	s_delay_alu instid0(VALU_DEP_1) | instskip(NEXT) | instid1(VALU_DEP_1)
	v_cmp_gt_u32_e64 s58, s22, v5
	s_and_saveexec_b32 s0, s58
	s_cbranch_execz .LBB6_127
; %bb.126:
	global_load_b64 v[121:122], v[1:2], off offset:120832
.LBB6_127:
	s_wait_alu 0xfffe
	s_or_b32 exec_lo, exec_lo, s0
	v_or_b32_e32 v5, 0x3c00, v0
                                        ; implicit-def: $vgpr123_vgpr124
	s_delay_alu instid0(VALU_DEP_1) | instskip(NEXT) | instid1(VALU_DEP_1)
	v_cmp_gt_u32_e64 s59, s22, v5
	s_and_saveexec_b32 s0, s59
	s_cbranch_execz .LBB6_129
; %bb.128:
	global_load_b64 v[123:124], v[1:2], off offset:122880
.LBB6_129:
	s_wait_alu 0xfffe
	s_or_b32 exec_lo, exec_lo, s0
	v_or_b32_e32 v5, 0x3d00, v0
                                        ; implicit-def: $vgpr125_vgpr126
	s_delay_alu instid0(VALU_DEP_1) | instskip(NEXT) | instid1(VALU_DEP_1)
	v_cmp_gt_u32_e64 s60, s22, v5
	s_and_saveexec_b32 s0, s60
	s_cbranch_execz .LBB6_131
; %bb.130:
	global_load_b64 v[125:126], v[1:2], off offset:124928
.LBB6_131:
	s_wait_alu 0xfffe
	s_or_b32 exec_lo, exec_lo, s0
	v_or_b32_e32 v5, 0x3e00, v0
                                        ; implicit-def: $vgpr127_vgpr128
	s_delay_alu instid0(VALU_DEP_1) | instskip(NEXT) | instid1(VALU_DEP_1)
	v_cmp_gt_u32_e64 s61, s22, v5
	s_and_saveexec_b32 s0, s61
	s_cbranch_execz .LBB6_133
; %bb.132:
	global_load_b64 v[127:128], v[1:2], off offset:126976
.LBB6_133:
	s_wait_alu 0xfffe
	s_or_b32 exec_lo, exec_lo, s0
	v_or_b32_e32 v5, 0x3f00, v0
                                        ; implicit-def: $vgpr129_vgpr130
	s_delay_alu instid0(VALU_DEP_1) | instskip(NEXT) | instid1(VALU_DEP_1)
	v_cmp_gt_u32_e64 s62, s22, v5
	s_and_saveexec_b32 s0, s62
	s_cbranch_execz .LBB6_135
; %bb.134:
	global_load_b64 v[129:130], v[1:2], off offset:129024
.LBB6_135:
	s_wait_alu 0xfffe
	s_or_b32 exec_lo, exec_lo, s0
	v_or_b32_e32 v5, 0x4000, v0
                                        ; implicit-def: $vgpr131_vgpr132
	s_delay_alu instid0(VALU_DEP_1) | instskip(NEXT) | instid1(VALU_DEP_1)
	v_cmp_gt_u32_e64 s63, s22, v5
	s_and_saveexec_b32 s0, s63
	s_cbranch_execz .LBB6_137
; %bb.136:
	global_load_b64 v[131:132], v[1:2], off offset:131072
.LBB6_137:
	s_wait_alu 0xfffe
	s_or_b32 exec_lo, exec_lo, s0
	v_or_b32_e32 v5, 0x4100, v0
                                        ; implicit-def: $vgpr133_vgpr134
	s_delay_alu instid0(VALU_DEP_1) | instskip(NEXT) | instid1(VALU_DEP_1)
	v_cmp_gt_u32_e64 s64, s22, v5
	s_and_saveexec_b32 s0, s64
	s_cbranch_execz .LBB6_139
; %bb.138:
	global_load_b64 v[133:134], v[1:2], off offset:133120
.LBB6_139:
	s_wait_alu 0xfffe
	s_or_b32 exec_lo, exec_lo, s0
	v_or_b32_e32 v5, 0x4200, v0
                                        ; implicit-def: $vgpr135_vgpr136
	s_delay_alu instid0(VALU_DEP_1) | instskip(NEXT) | instid1(VALU_DEP_1)
	v_cmp_gt_u32_e64 s65, s22, v5
	s_and_saveexec_b32 s0, s65
	s_cbranch_execz .LBB6_141
; %bb.140:
	global_load_b64 v[135:136], v[1:2], off offset:135168
.LBB6_141:
	s_wait_alu 0xfffe
	s_or_b32 exec_lo, exec_lo, s0
	v_or_b32_e32 v5, 0x4300, v0
                                        ; implicit-def: $vgpr137_vgpr138
	s_delay_alu instid0(VALU_DEP_1) | instskip(NEXT) | instid1(VALU_DEP_1)
	v_cmp_gt_u32_e64 s66, s22, v5
	s_and_saveexec_b32 s0, s66
	s_cbranch_execz .LBB6_143
; %bb.142:
	global_load_b64 v[137:138], v[1:2], off offset:137216
.LBB6_143:
	s_wait_alu 0xfffe
	s_or_b32 exec_lo, exec_lo, s0
	v_or_b32_e32 v5, 0x4400, v0
                                        ; implicit-def: $vgpr139_vgpr140
	s_delay_alu instid0(VALU_DEP_1) | instskip(NEXT) | instid1(VALU_DEP_1)
	v_cmp_gt_u32_e64 s67, s22, v5
	s_and_saveexec_b32 s0, s67
	s_cbranch_execz .LBB6_145
; %bb.144:
	global_load_b64 v[139:140], v[1:2], off offset:139264
.LBB6_145:
	s_wait_alu 0xfffe
	s_or_b32 exec_lo, exec_lo, s0
	v_or_b32_e32 v5, 0x4500, v0
                                        ; implicit-def: $vgpr141_vgpr142
	s_delay_alu instid0(VALU_DEP_1) | instskip(NEXT) | instid1(VALU_DEP_1)
	v_cmp_gt_u32_e64 s68, s22, v5
	s_and_saveexec_b32 s0, s68
	s_cbranch_execz .LBB6_147
; %bb.146:
	global_load_b64 v[141:142], v[1:2], off offset:141312
.LBB6_147:
	s_wait_alu 0xfffe
	s_or_b32 exec_lo, exec_lo, s0
	v_or_b32_e32 v5, 0x4600, v0
                                        ; implicit-def: $vgpr143_vgpr144
	s_delay_alu instid0(VALU_DEP_1) | instskip(NEXT) | instid1(VALU_DEP_1)
	v_cmp_gt_u32_e64 s69, s22, v5
	s_and_saveexec_b32 s0, s69
	s_cbranch_execz .LBB6_149
; %bb.148:
	global_load_b64 v[143:144], v[1:2], off offset:143360
.LBB6_149:
	s_wait_alu 0xfffe
	s_or_b32 exec_lo, exec_lo, s0
	v_or_b32_e32 v5, 0x4700, v0
                                        ; implicit-def: $vgpr145_vgpr146
	s_delay_alu instid0(VALU_DEP_1) | instskip(NEXT) | instid1(VALU_DEP_1)
	v_cmp_gt_u32_e64 s70, s22, v5
	s_and_saveexec_b32 s0, s70
	s_cbranch_execz .LBB6_151
; %bb.150:
	global_load_b64 v[145:146], v[1:2], off offset:145408
.LBB6_151:
	s_wait_alu 0xfffe
	s_or_b32 exec_lo, exec_lo, s0
	v_or_b32_e32 v5, 0x4800, v0
                                        ; implicit-def: $vgpr147_vgpr148
	s_delay_alu instid0(VALU_DEP_1) | instskip(NEXT) | instid1(VALU_DEP_1)
	v_cmp_gt_u32_e64 s71, s22, v5
	s_and_saveexec_b32 s0, s71
	s_cbranch_execz .LBB6_153
; %bb.152:
	global_load_b64 v[147:148], v[1:2], off offset:147456
.LBB6_153:
	s_wait_alu 0xfffe
	s_or_b32 exec_lo, exec_lo, s0
	v_or_b32_e32 v5, 0x4900, v0
                                        ; implicit-def: $vgpr149_vgpr150
	s_delay_alu instid0(VALU_DEP_1) | instskip(NEXT) | instid1(VALU_DEP_1)
	v_cmp_gt_u32_e64 s72, s22, v5
	s_and_saveexec_b32 s0, s72
	s_cbranch_execz .LBB6_155
; %bb.154:
	global_load_b64 v[149:150], v[1:2], off offset:149504
.LBB6_155:
	s_wait_alu 0xfffe
	s_or_b32 exec_lo, exec_lo, s0
	v_or_b32_e32 v5, 0x4a00, v0
                                        ; implicit-def: $vgpr151_vgpr152
	s_delay_alu instid0(VALU_DEP_1) | instskip(NEXT) | instid1(VALU_DEP_1)
	v_cmp_gt_u32_e64 s73, s22, v5
	s_and_saveexec_b32 s0, s73
	s_cbranch_execz .LBB6_157
; %bb.156:
	global_load_b64 v[151:152], v[1:2], off offset:151552
.LBB6_157:
	s_wait_alu 0xfffe
	s_or_b32 exec_lo, exec_lo, s0
	v_or_b32_e32 v5, 0x4b00, v0
                                        ; implicit-def: $vgpr153_vgpr154
	s_delay_alu instid0(VALU_DEP_1) | instskip(NEXT) | instid1(VALU_DEP_1)
	v_cmp_gt_u32_e64 s74, s22, v5
	s_and_saveexec_b32 s0, s74
	s_cbranch_execz .LBB6_159
; %bb.158:
	global_load_b64 v[153:154], v[1:2], off offset:153600
.LBB6_159:
	s_wait_alu 0xfffe
	s_or_b32 exec_lo, exec_lo, s0
	v_or_b32_e32 v5, 0x4c00, v0
                                        ; implicit-def: $vgpr155_vgpr156
	s_delay_alu instid0(VALU_DEP_1) | instskip(NEXT) | instid1(VALU_DEP_1)
	v_cmp_gt_u32_e64 s75, s22, v5
	s_and_saveexec_b32 s0, s75
	s_cbranch_execz .LBB6_161
; %bb.160:
	global_load_b64 v[155:156], v[1:2], off offset:155648
.LBB6_161:
	s_wait_alu 0xfffe
	s_or_b32 exec_lo, exec_lo, s0
	v_or_b32_e32 v5, 0x4d00, v0
                                        ; implicit-def: $vgpr157_vgpr158
	s_delay_alu instid0(VALU_DEP_1) | instskip(NEXT) | instid1(VALU_DEP_1)
	v_cmp_gt_u32_e64 s76, s22, v5
	s_and_saveexec_b32 s0, s76
	s_cbranch_execz .LBB6_163
; %bb.162:
	global_load_b64 v[157:158], v[1:2], off offset:157696
.LBB6_163:
	s_wait_alu 0xfffe
	s_or_b32 exec_lo, exec_lo, s0
	v_or_b32_e32 v5, 0x4e00, v0
                                        ; implicit-def: $vgpr159_vgpr160
	s_delay_alu instid0(VALU_DEP_1) | instskip(NEXT) | instid1(VALU_DEP_1)
	v_cmp_gt_u32_e64 s77, s22, v5
	s_and_saveexec_b32 s0, s77
	s_cbranch_execz .LBB6_165
; %bb.164:
	global_load_b64 v[159:160], v[1:2], off offset:159744
.LBB6_165:
	s_wait_alu 0xfffe
	s_or_b32 exec_lo, exec_lo, s0
	v_or_b32_e32 v5, 0x4f00, v0
                                        ; implicit-def: $vgpr161_vgpr162
	s_delay_alu instid0(VALU_DEP_1) | instskip(NEXT) | instid1(VALU_DEP_1)
	v_cmp_gt_u32_e64 s78, s22, v5
	s_and_saveexec_b32 s0, s78
	s_cbranch_execz .LBB6_167
; %bb.166:
	global_load_b64 v[161:162], v[1:2], off offset:161792
.LBB6_167:
	s_wait_alu 0xfffe
	s_or_b32 exec_lo, exec_lo, s0
	v_or_b32_e32 v5, 0x5000, v0
                                        ; implicit-def: $vgpr163_vgpr164
	s_delay_alu instid0(VALU_DEP_1) | instskip(NEXT) | instid1(VALU_DEP_1)
	v_cmp_gt_u32_e64 s79, s22, v5
	s_and_saveexec_b32 s0, s79
	s_cbranch_execz .LBB6_169
; %bb.168:
	global_load_b64 v[163:164], v[1:2], off offset:163840
.LBB6_169:
	s_wait_alu 0xfffe
	s_or_b32 exec_lo, exec_lo, s0
	v_or_b32_e32 v5, 0x5100, v0
                                        ; implicit-def: $vgpr165_vgpr166
	s_delay_alu instid0(VALU_DEP_1) | instskip(NEXT) | instid1(VALU_DEP_1)
	v_cmp_gt_u32_e64 s80, s22, v5
	s_and_saveexec_b32 s0, s80
	s_cbranch_execz .LBB6_171
; %bb.170:
	global_load_b64 v[165:166], v[1:2], off offset:165888
.LBB6_171:
	s_wait_alu 0xfffe
	s_or_b32 exec_lo, exec_lo, s0
	v_or_b32_e32 v5, 0x5200, v0
                                        ; implicit-def: $vgpr167_vgpr168
	s_delay_alu instid0(VALU_DEP_1) | instskip(NEXT) | instid1(VALU_DEP_1)
	v_cmp_gt_u32_e64 s81, s22, v5
	s_and_saveexec_b32 s0, s81
	s_cbranch_execz .LBB6_173
; %bb.172:
	global_load_b64 v[167:168], v[1:2], off offset:167936
.LBB6_173:
	s_wait_alu 0xfffe
	s_or_b32 exec_lo, exec_lo, s0
	v_or_b32_e32 v5, 0x5300, v0
                                        ; implicit-def: $vgpr169_vgpr170
	s_delay_alu instid0(VALU_DEP_1) | instskip(NEXT) | instid1(VALU_DEP_1)
	v_cmp_gt_u32_e64 s82, s22, v5
	s_and_saveexec_b32 s0, s82
	s_cbranch_execz .LBB6_175
; %bb.174:
	global_load_b64 v[169:170], v[1:2], off offset:169984
.LBB6_175:
	s_wait_alu 0xfffe
	s_or_b32 exec_lo, exec_lo, s0
	v_or_b32_e32 v5, 0x5400, v0
                                        ; implicit-def: $vgpr171_vgpr172
	s_delay_alu instid0(VALU_DEP_1) | instskip(NEXT) | instid1(VALU_DEP_1)
	v_cmp_gt_u32_e64 s83, s22, v5
	s_and_saveexec_b32 s0, s83
	s_cbranch_execz .LBB6_177
; %bb.176:
	global_load_b64 v[171:172], v[1:2], off offset:172032
.LBB6_177:
	s_wait_alu 0xfffe
	s_or_b32 exec_lo, exec_lo, s0
	v_or_b32_e32 v5, 0x5500, v0
                                        ; implicit-def: $vgpr173_vgpr174
	s_delay_alu instid0(VALU_DEP_1) | instskip(NEXT) | instid1(VALU_DEP_1)
	v_cmp_gt_u32_e64 s84, s22, v5
	s_and_saveexec_b32 s0, s84
	s_cbranch_execz .LBB6_179
; %bb.178:
	global_load_b64 v[173:174], v[1:2], off offset:174080
.LBB6_179:
	s_wait_alu 0xfffe
	s_or_b32 exec_lo, exec_lo, s0
	v_or_b32_e32 v5, 0x5600, v0
                                        ; implicit-def: $vgpr175_vgpr176
	s_delay_alu instid0(VALU_DEP_1) | instskip(NEXT) | instid1(VALU_DEP_1)
	v_cmp_gt_u32_e64 s85, s22, v5
	s_and_saveexec_b32 s0, s85
	s_cbranch_execz .LBB6_181
; %bb.180:
	global_load_b64 v[175:176], v[1:2], off offset:176128
.LBB6_181:
	s_wait_alu 0xfffe
	s_or_b32 exec_lo, exec_lo, s0
	v_or_b32_e32 v5, 0x5700, v0
                                        ; implicit-def: $vgpr177_vgpr178
	s_delay_alu instid0(VALU_DEP_1) | instskip(NEXT) | instid1(VALU_DEP_1)
	v_cmp_gt_u32_e64 s86, s22, v5
	s_and_saveexec_b32 s0, s86
	s_cbranch_execz .LBB6_183
; %bb.182:
	global_load_b64 v[177:178], v[1:2], off offset:178176
.LBB6_183:
	s_wait_alu 0xfffe
	s_or_b32 exec_lo, exec_lo, s0
	v_or_b32_e32 v5, 0x5800, v0
                                        ; implicit-def: $vgpr179_vgpr180
	s_delay_alu instid0(VALU_DEP_1) | instskip(NEXT) | instid1(VALU_DEP_1)
	v_cmp_gt_u32_e64 s87, s22, v5
	s_and_saveexec_b32 s0, s87
	s_cbranch_execz .LBB6_185
; %bb.184:
	global_load_b64 v[179:180], v[1:2], off offset:180224
.LBB6_185:
	s_wait_alu 0xfffe
	s_or_b32 exec_lo, exec_lo, s0
	v_or_b32_e32 v5, 0x5900, v0
                                        ; implicit-def: $vgpr181_vgpr182
	s_delay_alu instid0(VALU_DEP_1) | instskip(NEXT) | instid1(VALU_DEP_1)
	v_cmp_gt_u32_e64 s88, s22, v5
	s_and_saveexec_b32 s0, s88
	s_cbranch_execz .LBB6_187
; %bb.186:
	global_load_b64 v[181:182], v[1:2], off offset:182272
.LBB6_187:
	s_wait_alu 0xfffe
	s_or_b32 exec_lo, exec_lo, s0
	v_or_b32_e32 v5, 0x5a00, v0
                                        ; implicit-def: $vgpr183_vgpr184
	s_delay_alu instid0(VALU_DEP_1) | instskip(NEXT) | instid1(VALU_DEP_1)
	v_cmp_gt_u32_e64 s89, s22, v5
	s_and_saveexec_b32 s0, s89
	s_cbranch_execz .LBB6_189
; %bb.188:
	global_load_b64 v[183:184], v[1:2], off offset:184320
.LBB6_189:
	s_wait_alu 0xfffe
	s_or_b32 exec_lo, exec_lo, s0
	v_or_b32_e32 v5, 0x5b00, v0
                                        ; implicit-def: $vgpr185_vgpr186
	s_delay_alu instid0(VALU_DEP_1) | instskip(NEXT) | instid1(VALU_DEP_1)
	v_cmp_gt_u32_e64 s90, s22, v5
	s_and_saveexec_b32 s0, s90
	s_cbranch_execz .LBB6_191
; %bb.190:
	global_load_b64 v[185:186], v[1:2], off offset:186368
.LBB6_191:
	s_wait_alu 0xfffe
	s_or_b32 exec_lo, exec_lo, s0
	v_or_b32_e32 v5, 0x5c00, v0
                                        ; implicit-def: $vgpr187_vgpr188
	s_delay_alu instid0(VALU_DEP_1) | instskip(NEXT) | instid1(VALU_DEP_1)
	v_cmp_gt_u32_e64 s91, s22, v5
	s_and_saveexec_b32 s0, s91
	s_cbranch_execz .LBB6_193
; %bb.192:
	global_load_b64 v[187:188], v[1:2], off offset:188416
.LBB6_193:
	s_wait_alu 0xfffe
	s_or_b32 exec_lo, exec_lo, s0
	v_or_b32_e32 v5, 0x5d00, v0
                                        ; implicit-def: $vgpr189_vgpr190
	s_delay_alu instid0(VALU_DEP_1) | instskip(NEXT) | instid1(VALU_DEP_1)
	v_cmp_gt_u32_e64 s92, s22, v5
	s_and_saveexec_b32 s0, s92
	s_cbranch_execz .LBB6_195
; %bb.194:
	global_load_b64 v[189:190], v[1:2], off offset:190464
.LBB6_195:
	s_wait_alu 0xfffe
	s_or_b32 exec_lo, exec_lo, s0
	v_or_b32_e32 v5, 0x5e00, v0
                                        ; implicit-def: $vgpr191_vgpr192
	s_delay_alu instid0(VALU_DEP_1) | instskip(NEXT) | instid1(VALU_DEP_1)
	v_cmp_gt_u32_e64 s93, s22, v5
	s_and_saveexec_b32 s0, s93
	s_cbranch_execz .LBB6_197
; %bb.196:
	global_load_b64 v[191:192], v[1:2], off offset:192512
.LBB6_197:
	s_wait_alu 0xfffe
	s_or_b32 exec_lo, exec_lo, s0
	v_or_b32_e32 v5, 0x5f00, v0
                                        ; implicit-def: $vgpr193_vgpr194
	s_delay_alu instid0(VALU_DEP_1) | instskip(NEXT) | instid1(VALU_DEP_1)
	v_cmp_gt_u32_e64 s94, s22, v5
	s_and_saveexec_b32 s0, s94
	s_cbranch_execz .LBB6_199
; %bb.198:
	global_load_b64 v[193:194], v[1:2], off offset:194560
.LBB6_199:
	s_wait_alu 0xfffe
	s_or_b32 exec_lo, exec_lo, s0
	v_or_b32_e32 v5, 0x6000, v0
                                        ; implicit-def: $vgpr195_vgpr196
	s_delay_alu instid0(VALU_DEP_1) | instskip(NEXT) | instid1(VALU_DEP_1)
	v_cmp_gt_u32_e64 s95, s22, v5
	s_and_saveexec_b32 s0, s95
	s_cbranch_execz .LBB6_201
; %bb.200:
	global_load_b64 v[195:196], v[1:2], off offset:196608
.LBB6_201:
	s_wait_alu 0xfffe
	s_or_b32 exec_lo, exec_lo, s0
	v_or_b32_e32 v5, 0x6100, v0
                                        ; implicit-def: $vgpr197_vgpr198
	s_delay_alu instid0(VALU_DEP_1) | instskip(NEXT) | instid1(VALU_DEP_1)
	v_cmp_gt_u32_e64 s96, s22, v5
	s_and_saveexec_b32 s0, s96
	s_cbranch_execz .LBB6_203
; %bb.202:
	global_load_b64 v[197:198], v[1:2], off offset:198656
.LBB6_203:
	s_wait_alu 0xfffe
	s_or_b32 exec_lo, exec_lo, s0
	v_or_b32_e32 v5, 0x6200, v0
                                        ; implicit-def: $vgpr199_vgpr200
	s_delay_alu instid0(VALU_DEP_1) | instskip(NEXT) | instid1(VALU_DEP_1)
	v_cmp_gt_u32_e64 s97, s22, v5
	s_and_saveexec_b32 s0, s97
	s_cbranch_execz .LBB6_205
; %bb.204:
	global_load_b64 v[199:200], v[1:2], off offset:200704
.LBB6_205:
	s_wait_alu 0xfffe
	s_or_b32 exec_lo, exec_lo, s0
	v_or_b32_e32 v5, 0x6300, v0
                                        ; implicit-def: $vgpr201_vgpr202
	s_delay_alu instid0(VALU_DEP_1) | instskip(NEXT) | instid1(VALU_DEP_1)
	v_cmp_gt_u32_e64 s98, s22, v5
	s_and_saveexec_b32 s0, s98
	s_cbranch_execz .LBB6_207
; %bb.206:
	global_load_b64 v[201:202], v[1:2], off offset:202752
.LBB6_207:
	s_wait_alu 0xfffe
	s_or_b32 exec_lo, exec_lo, s0
	v_or_b32_e32 v5, 0x6400, v0
                                        ; implicit-def: $vgpr203_vgpr204
	s_delay_alu instid0(VALU_DEP_1) | instskip(NEXT) | instid1(VALU_DEP_1)
	v_cmp_gt_u32_e64 s99, s22, v5
	s_and_saveexec_b32 s0, s99
	s_cbranch_execz .LBB6_209
; %bb.208:
	global_load_b64 v[203:204], v[1:2], off offset:204800
.LBB6_209:
	s_wait_alu 0xfffe
	s_or_b32 exec_lo, exec_lo, s0
	v_or_b32_e32 v5, 0x6500, v0
                                        ; implicit-def: $vgpr205_vgpr206
	s_delay_alu instid0(VALU_DEP_1) | instskip(NEXT) | instid1(VALU_DEP_1)
	v_cmp_gt_u32_e64 s100, s22, v5
	s_and_saveexec_b32 s0, s100
	s_cbranch_execz .LBB6_211
; %bb.210:
	global_load_b64 v[205:206], v[1:2], off offset:206848
.LBB6_211:
	s_wait_alu 0xfffe
	s_or_b32 exec_lo, exec_lo, s0
	v_or_b32_e32 v5, 0x6600, v0
                                        ; implicit-def: $vgpr207_vgpr208
	s_delay_alu instid0(VALU_DEP_1) | instskip(NEXT) | instid1(VALU_DEP_1)
	v_cmp_gt_u32_e64 s101, s22, v5
	s_and_saveexec_b32 s0, s101
	s_cbranch_execz .LBB6_213
; %bb.212:
	global_load_b64 v[207:208], v[1:2], off offset:208896
.LBB6_213:
	s_wait_alu 0xfffe
	s_or_b32 exec_lo, exec_lo, s0
	v_or_b32_e32 v5, 0x6700, v0
                                        ; implicit-def: $vgpr209_vgpr210
	s_delay_alu instid0(VALU_DEP_1) | instskip(NEXT) | instid1(VALU_DEP_1)
	v_cmp_gt_u32_e64 s102, s22, v5
	s_and_saveexec_b32 s0, s102
	s_cbranch_execz .LBB6_215
; %bb.214:
	global_load_b64 v[209:210], v[1:2], off offset:210944
.LBB6_215:
	s_wait_alu 0xfffe
	s_or_b32 exec_lo, exec_lo, s0
	v_or_b32_e32 v5, 0x6800, v0
                                        ; implicit-def: $vgpr211_vgpr212
	s_delay_alu instid0(VALU_DEP_1) | instskip(NEXT) | instid1(VALU_DEP_1)
	v_cmp_gt_u32_e64 s103, s22, v5
	s_and_saveexec_b32 s0, s103
	s_cbranch_execz .LBB6_217
; %bb.216:
	global_load_b64 v[211:212], v[1:2], off offset:212992
.LBB6_217:
	s_wait_alu 0xfffe
	s_or_b32 exec_lo, exec_lo, s0
	v_or_b32_e32 v5, 0x6900, v0
                                        ; implicit-def: $vgpr213_vgpr214
	s_delay_alu instid0(VALU_DEP_1) | instskip(NEXT) | instid1(VALU_DEP_1)
	v_cmp_gt_u32_e64 s104, s22, v5
	s_and_saveexec_b32 s0, s104
	s_cbranch_execz .LBB6_219
; %bb.218:
	global_load_b64 v[213:214], v[1:2], off offset:215040
.LBB6_219:
	s_wait_alu 0xfffe
	s_or_b32 exec_lo, exec_lo, s0
	v_or_b32_e32 v5, 0x6a00, v0
                                        ; implicit-def: $vgpr215_vgpr216
	s_delay_alu instid0(VALU_DEP_1) | instskip(NEXT) | instid1(VALU_DEP_1)
	v_cmp_gt_u32_e64 vcc_hi, s22, v5
	s_and_saveexec_b32 s0, vcc_hi
	s_cbranch_execz .LBB6_221
; %bb.220:
	global_load_b64 v[215:216], v[1:2], off offset:217088
.LBB6_221:
	s_wait_alu 0xfffe
	s_or_b32 exec_lo, exec_lo, s0
	v_or_b32_e32 v5, 0x6b00, v0
                                        ; implicit-def: $vgpr217_vgpr218
	s_delay_alu instid0(VALU_DEP_1) | instskip(NEXT) | instid1(VALU_DEP_1)
	v_cmp_gt_u32_e64 s0, s22, v5
	s_and_saveexec_b32 s1, s0
	s_cbranch_execz .LBB6_223
; %bb.222:
	global_load_b64 v[217:218], v[1:2], off offset:219136
.LBB6_223:
	s_wait_alu 0xfffe
	s_or_b32 exec_lo, exec_lo, s1
	v_or_b32_e32 v5, 0x6c00, v0
                                        ; implicit-def: $vgpr219_vgpr220
	s_delay_alu instid0(VALU_DEP_1) | instskip(NEXT) | instid1(VALU_DEP_1)
	v_cmp_gt_u32_e64 s1, s22, v5
	s_and_saveexec_b32 s2, s1
	s_cbranch_execz .LBB6_225
; %bb.224:
	global_load_b64 v[219:220], v[1:2], off offset:221184
.LBB6_225:
	s_wait_alu 0xfffe
	s_or_b32 exec_lo, exec_lo, s2
	v_or_b32_e32 v5, 0x6d00, v0
                                        ; implicit-def: $vgpr221_vgpr222
	s_delay_alu instid0(VALU_DEP_1) | instskip(NEXT) | instid1(VALU_DEP_1)
	v_cmp_gt_u32_e64 s2, s22, v5
	s_and_saveexec_b32 s3, s2
	s_cbranch_execz .LBB6_227
; %bb.226:
	global_load_b64 v[221:222], v[1:2], off offset:223232
.LBB6_227:
	s_wait_alu 0xfffe
	s_or_b32 exec_lo, exec_lo, s3
	v_or_b32_e32 v5, 0x6e00, v0
                                        ; implicit-def: $vgpr223_vgpr224
	s_delay_alu instid0(VALU_DEP_1) | instskip(NEXT) | instid1(VALU_DEP_1)
	v_cmp_gt_u32_e64 s3, s22, v5
	s_and_saveexec_b32 s4, s3
	s_cbranch_execz .LBB6_229
; %bb.228:
	global_load_b64 v[223:224], v[1:2], off offset:225280
.LBB6_229:
	s_wait_alu 0xfffe
	s_or_b32 exec_lo, exec_lo, s4
	v_or_b32_e32 v5, 0x6f00, v0
                                        ; implicit-def: $vgpr225_vgpr226
	s_delay_alu instid0(VALU_DEP_1) | instskip(NEXT) | instid1(VALU_DEP_1)
	v_cmp_gt_u32_e64 s4, s22, v5
	s_and_saveexec_b32 s5, s4
	s_cbranch_execz .LBB6_231
; %bb.230:
	global_load_b64 v[225:226], v[1:2], off offset:227328
.LBB6_231:
	s_wait_alu 0xfffe
	s_or_b32 exec_lo, exec_lo, s5
	v_or_b32_e32 v5, 0x7000, v0
                                        ; implicit-def: $vgpr227_vgpr228
	s_delay_alu instid0(VALU_DEP_1) | instskip(NEXT) | instid1(VALU_DEP_1)
	v_cmp_gt_u32_e64 s5, s22, v5
	s_and_saveexec_b32 s6, s5
	s_cbranch_execz .LBB6_233
; %bb.232:
	global_load_b64 v[227:228], v[1:2], off offset:229376
.LBB6_233:
	s_wait_alu 0xfffe
	s_or_b32 exec_lo, exec_lo, s6
	v_or_b32_e32 v5, 0x7100, v0
                                        ; implicit-def: $vgpr229_vgpr230
	s_delay_alu instid0(VALU_DEP_1) | instskip(NEXT) | instid1(VALU_DEP_1)
	v_cmp_gt_u32_e64 s6, s22, v5
	s_and_saveexec_b32 s7, s6
	s_cbranch_execz .LBB6_235
; %bb.234:
	global_load_b64 v[229:230], v[1:2], off offset:231424
.LBB6_235:
	s_wait_alu 0xfffe
	s_or_b32 exec_lo, exec_lo, s7
	v_or_b32_e32 v5, 0x7200, v0
                                        ; implicit-def: $vgpr231_vgpr232
	s_delay_alu instid0(VALU_DEP_1) | instskip(NEXT) | instid1(VALU_DEP_1)
	v_cmp_gt_u32_e64 s7, s22, v5
	s_and_saveexec_b32 s8, s7
	s_cbranch_execz .LBB6_237
; %bb.236:
	global_load_b64 v[231:232], v[1:2], off offset:233472
.LBB6_237:
	s_wait_alu 0xfffe
	s_or_b32 exec_lo, exec_lo, s8
	v_or_b32_e32 v5, 0x7300, v0
                                        ; implicit-def: $vgpr233_vgpr234
	s_delay_alu instid0(VALU_DEP_1) | instskip(NEXT) | instid1(VALU_DEP_1)
	v_cmp_gt_u32_e64 s8, s22, v5
	s_and_saveexec_b32 s9, s8
	s_cbranch_execz .LBB6_239
; %bb.238:
	global_load_b64 v[233:234], v[1:2], off offset:235520
.LBB6_239:
	s_wait_alu 0xfffe
	s_or_b32 exec_lo, exec_lo, s9
	v_or_b32_e32 v5, 0x7400, v0
                                        ; implicit-def: $vgpr235_vgpr236
	s_delay_alu instid0(VALU_DEP_1) | instskip(NEXT) | instid1(VALU_DEP_1)
	v_cmp_gt_u32_e64 s9, s22, v5
	s_and_saveexec_b32 s10, s9
	s_cbranch_execz .LBB6_241
; %bb.240:
	global_load_b64 v[235:236], v[1:2], off offset:237568
.LBB6_241:
	s_wait_alu 0xfffe
	s_or_b32 exec_lo, exec_lo, s10
	v_or_b32_e32 v5, 0x7500, v0
                                        ; implicit-def: $vgpr237_vgpr238
	s_delay_alu instid0(VALU_DEP_1) | instskip(NEXT) | instid1(VALU_DEP_1)
	v_cmp_gt_u32_e64 s10, s22, v5
	s_and_saveexec_b32 s11, s10
	s_cbranch_execz .LBB6_243
; %bb.242:
	global_load_b64 v[237:238], v[1:2], off offset:239616
.LBB6_243:
	s_wait_alu 0xfffe
	s_or_b32 exec_lo, exec_lo, s11
	v_or_b32_e32 v5, 0x7600, v0
                                        ; implicit-def: $vgpr239_vgpr240
	s_delay_alu instid0(VALU_DEP_1) | instskip(NEXT) | instid1(VALU_DEP_1)
	v_cmp_gt_u32_e64 s11, s22, v5
	s_and_saveexec_b32 s12, s11
	s_cbranch_execz .LBB6_245
; %bb.244:
	global_load_b64 v[239:240], v[1:2], off offset:241664
.LBB6_245:
	s_or_b32 exec_lo, exec_lo, s12
	v_or_b32_e32 v5, 0x7700, v0
                                        ; implicit-def: $vgpr241_vgpr242
	s_delay_alu instid0(VALU_DEP_1) | instskip(NEXT) | instid1(VALU_DEP_1)
	v_cmp_gt_u32_e64 s12, s22, v5
	s_and_saveexec_b32 s13, s12
	s_cbranch_execz .LBB6_247
; %bb.246:
	global_load_b64 v[241:242], v[1:2], off offset:243712
.LBB6_247:
	s_or_b32 exec_lo, exec_lo, s13
	v_or_b32_e32 v5, 0x7800, v0
                                        ; implicit-def: $vgpr243_vgpr244
	s_delay_alu instid0(VALU_DEP_1) | instskip(NEXT) | instid1(VALU_DEP_1)
	v_cmp_gt_u32_e64 s13, s22, v5
	s_and_saveexec_b32 s14, s13
	s_cbranch_execz .LBB6_249
; %bb.248:
	global_load_b64 v[243:244], v[1:2], off offset:245760
.LBB6_249:
	s_or_b32 exec_lo, exec_lo, s14
	v_or_b32_e32 v5, 0x7900, v0
                                        ; implicit-def: $vgpr245_vgpr246
	s_delay_alu instid0(VALU_DEP_1) | instskip(NEXT) | instid1(VALU_DEP_1)
	v_cmp_gt_u32_e64 s14, s22, v5
	s_and_saveexec_b32 s15, s14
	s_cbranch_execz .LBB6_251
; %bb.250:
	global_load_b64 v[245:246], v[1:2], off offset:247808
.LBB6_251:
	s_or_b32 exec_lo, exec_lo, s15
	v_or_b32_e32 v5, 0x7a00, v0
                                        ; implicit-def: $vgpr247_vgpr248
	s_delay_alu instid0(VALU_DEP_1) | instskip(NEXT) | instid1(VALU_DEP_1)
	v_cmp_gt_u32_e64 s15, s22, v5
	s_and_saveexec_b32 s16, s15
	s_cbranch_execz .LBB6_253
; %bb.252:
	global_load_b64 v[247:248], v[1:2], off offset:249856
.LBB6_253:
	s_or_b32 exec_lo, exec_lo, s16
	v_or_b32_e32 v5, 0x7b00, v0
                                        ; implicit-def: $vgpr249_vgpr250
	s_delay_alu instid0(VALU_DEP_1) | instskip(NEXT) | instid1(VALU_DEP_1)
	v_cmp_gt_u32_e64 s16, s22, v5
	s_and_saveexec_b32 s17, s16
	s_cbranch_execz .LBB6_255
; %bb.254:
	global_load_b64 v[249:250], v[1:2], off offset:251904
.LBB6_255:
	s_or_b32 exec_lo, exec_lo, s17
	v_or_b32_e32 v5, 0x7c00, v0
                                        ; implicit-def: $vgpr251_vgpr252
	s_delay_alu instid0(VALU_DEP_1) | instskip(NEXT) | instid1(VALU_DEP_1)
	v_cmp_gt_u32_e64 s17, s22, v5
	s_and_saveexec_b32 s18, s17
	s_cbranch_execz .LBB6_257
; %bb.256:
	global_load_b64 v[251:252], v[1:2], off offset:253952
.LBB6_257:
	s_or_b32 exec_lo, exec_lo, s18
	v_or_b32_e32 v5, 0x7d00, v0
	s_delay_alu instid0(VALU_DEP_1) | instskip(NEXT) | instid1(VALU_DEP_1)
	v_cmp_gt_u32_e64 s18, s22, v5
                                        ; implicit-def: $vgpr5_vgpr6
	s_and_saveexec_b32 s19, s18
	s_cbranch_execz .LBB6_259
; %bb.258:
	global_load_b64 v[5:6], v[1:2], off offset:256000
.LBB6_259:
	s_or_b32 exec_lo, exec_lo, s19
	v_or_b32_e32 v7, 0x7e00, v0
	s_delay_alu instid0(VALU_DEP_1)
	v_cmp_gt_u32_e32 vcc_lo, s22, v7
                                        ; implicit-def: $vgpr7_vgpr8
	s_and_saveexec_b32 s19, vcc_lo
	s_cbranch_execz .LBB6_261
; %bb.260:
	global_load_b64 v[7:8], v[1:2], off offset:258048
.LBB6_261:
	s_or_b32 exec_lo, exec_lo, s19
	v_or_b32_e32 v9, 0x7f00, v0
	s_delay_alu instid0(VALU_DEP_1) | instskip(NEXT) | instid1(VALU_DEP_1)
	v_cmp_gt_u32_e64 s19, s22, v9
                                        ; implicit-def: $vgpr9_vgpr10
	s_and_saveexec_b32 s23, s19
	s_cbranch_execz .LBB6_263
; %bb.262:
	global_load_b64 v[9:10], v[1:2], off offset:260096
.LBB6_263:
	s_wait_alu 0xfffe
	s_or_b32 exec_lo, exec_lo, s23
	scratch_load_b64 v[1:2], off, off th:TH_LOAD_LU ; 8-byte Folded Reload
	v_readlane_b32 s23, v254, 8
	s_wait_loadcnt 0x0
	v_add_f64_e32 v[1:2], v[3:4], v[1:2]
	s_wait_alu 0xf1ff
	s_delay_alu instid0(VALU_DEP_1) | instskip(NEXT) | instid1(VALU_DEP_2)
	v_cndmask_b32_e64 v2, v4, v2, s23
	v_cndmask_b32_e64 v1, v3, v1, s23
	scratch_load_b64 v[3:4], off, off offset:8 th:TH_LOAD_LU ; 8-byte Folded Reload
	v_readlane_b32 s23, v254, 9
	s_wait_loadcnt 0x0
	v_add_f64_e32 v[3:4], v[1:2], v[3:4]
	s_wait_alu 0xf1ff
	s_delay_alu instid0(VALU_DEP_1) | instskip(NEXT) | instid1(VALU_DEP_2)
	v_cndmask_b32_e64 v2, v2, v4, s23
	v_cndmask_b32_e64 v1, v1, v3, s23
	scratch_load_b64 v[3:4], off, off offset:16 th:TH_LOAD_LU ; 8-byte Folded Reload
	v_readlane_b32 s23, v254, 10
	s_wait_loadcnt 0x0
	v_add_f64_e32 v[3:4], v[1:2], v[3:4]
	s_wait_alu 0xf1ff
	s_delay_alu instid0(VALU_DEP_1) | instskip(NEXT) | instid1(VALU_DEP_2)
	v_cndmask_b32_e64 v2, v2, v4, s23
	v_cndmask_b32_e64 v1, v1, v3, s23
	v_readlane_b32 s23, v254, 11
	s_delay_alu instid0(VALU_DEP_2) | instskip(SKIP_1) | instid1(VALU_DEP_1)
	v_add_f64_e32 v[3:4], v[1:2], v[11:12]
	s_wait_alu 0xf1ff
	v_cndmask_b32_e64 v2, v2, v4, s23
	s_delay_alu instid0(VALU_DEP_2) | instskip(SKIP_1) | instid1(VALU_DEP_2)
	v_cndmask_b32_e64 v1, v1, v3, s23
	v_readlane_b32 s23, v254, 12
	v_add_f64_e32 v[3:4], v[1:2], v[13:14]
	s_wait_alu 0xf1ff
	s_delay_alu instid0(VALU_DEP_1) | instskip(NEXT) | instid1(VALU_DEP_2)
	v_cndmask_b32_e64 v2, v2, v4, s23
	v_cndmask_b32_e64 v1, v1, v3, s23
	v_readlane_b32 s23, v254, 13
	s_delay_alu instid0(VALU_DEP_2) | instskip(SKIP_1) | instid1(VALU_DEP_1)
	v_add_f64_e32 v[3:4], v[1:2], v[15:16]
	s_wait_alu 0xf1ff
	v_cndmask_b32_e64 v2, v2, v4, s23
	s_delay_alu instid0(VALU_DEP_2) | instskip(SKIP_1) | instid1(VALU_DEP_2)
	v_cndmask_b32_e64 v1, v1, v3, s23
	v_readlane_b32 s23, v254, 14
	;; [unrolled: 13-line block ×11, first 2 shown]
	v_add_f64_e32 v[3:4], v[1:2], v[53:54]
	s_wait_alu 0xf1ff
	s_delay_alu instid0(VALU_DEP_1) | instskip(NEXT) | instid1(VALU_DEP_2)
	v_cndmask_b32_e64 v2, v2, v4, s23
	v_cndmask_b32_e64 v1, v1, v3, s23
	v_readlane_b32 s23, v255, 1
	s_delay_alu instid0(VALU_DEP_2) | instskip(SKIP_1) | instid1(VALU_DEP_1)
	v_add_f64_e32 v[3:4], v[1:2], v[55:56]
	s_wait_alu 0xf1ff
	v_cndmask_b32_e64 v2, v2, v4, s23
	s_delay_alu instid0(VALU_DEP_2) | instskip(NEXT) | instid1(VALU_DEP_1)
	v_cndmask_b32_e64 v1, v1, v3, s23
	v_add_f64_e32 v[3:4], v[1:2], v[57:58]
	s_delay_alu instid0(VALU_DEP_1) | instskip(NEXT) | instid1(VALU_DEP_2)
	v_cndmask_b32_e64 v2, v2, v4, s25
	v_cndmask_b32_e64 v1, v1, v3, s25
	s_delay_alu instid0(VALU_DEP_1) | instskip(NEXT) | instid1(VALU_DEP_1)
	v_add_f64_e32 v[3:4], v[1:2], v[59:60]
	v_cndmask_b32_e64 v2, v2, v4, s26
	s_delay_alu instid0(VALU_DEP_2) | instskip(NEXT) | instid1(VALU_DEP_1)
	v_cndmask_b32_e64 v1, v1, v3, s26
	v_add_f64_e32 v[3:4], v[1:2], v[61:62]
	s_delay_alu instid0(VALU_DEP_1) | instskip(NEXT) | instid1(VALU_DEP_2)
	v_cndmask_b32_e64 v2, v2, v4, s27
	v_cndmask_b32_e64 v1, v1, v3, s27
	s_delay_alu instid0(VALU_DEP_1) | instskip(NEXT) | instid1(VALU_DEP_1)
	v_add_f64_e32 v[3:4], v[1:2], v[63:64]
	;; [unrolled: 9-line block ×40, first 2 shown]
	v_cndmask_b32_e64 v2, v2, v4, vcc_hi
	s_delay_alu instid0(VALU_DEP_2) | instskip(NEXT) | instid1(VALU_DEP_1)
	v_cndmask_b32_e64 v1, v1, v3, vcc_hi
	v_add_f64_e32 v[3:4], v[1:2], v[217:218]
	s_delay_alu instid0(VALU_DEP_1) | instskip(NEXT) | instid1(VALU_DEP_2)
	v_cndmask_b32_e64 v2, v2, v4, s0
	v_cndmask_b32_e64 v1, v1, v3, s0
	s_min_u32 s0, s22, 0x100
	s_delay_alu instid0(VALU_DEP_1) | instskip(NEXT) | instid1(VALU_DEP_1)
	v_add_f64_e32 v[3:4], v[1:2], v[219:220]
	v_cndmask_b32_e64 v2, v2, v4, s1
	s_delay_alu instid0(VALU_DEP_2) | instskip(SKIP_1) | instid1(VALU_DEP_1)
	v_cndmask_b32_e64 v1, v1, v3, s1
	s_mov_b32 s1, exec_lo
	v_add_f64_e32 v[3:4], v[1:2], v[221:222]
	s_delay_alu instid0(VALU_DEP_1) | instskip(NEXT) | instid1(VALU_DEP_2)
	v_cndmask_b32_e64 v2, v2, v4, s2
	v_cndmask_b32_e64 v1, v1, v3, s2
	s_delay_alu instid0(VALU_DEP_1) | instskip(NEXT) | instid1(VALU_DEP_1)
	v_add_f64_e32 v[3:4], v[1:2], v[223:224]
	v_cndmask_b32_e64 v2, v2, v4, s3
	s_delay_alu instid0(VALU_DEP_2) | instskip(NEXT) | instid1(VALU_DEP_1)
	v_cndmask_b32_e64 v1, v1, v3, s3
	v_add_f64_e32 v[3:4], v[1:2], v[225:226]
	s_delay_alu instid0(VALU_DEP_1) | instskip(NEXT) | instid1(VALU_DEP_2)
	v_cndmask_b32_e64 v2, v2, v4, s4
	v_cndmask_b32_e64 v1, v1, v3, s4
	s_delay_alu instid0(VALU_DEP_1) | instskip(NEXT) | instid1(VALU_DEP_1)
	v_add_f64_e32 v[3:4], v[1:2], v[227:228]
	v_cndmask_b32_e64 v2, v2, v4, s5
	s_delay_alu instid0(VALU_DEP_2) | instskip(NEXT) | instid1(VALU_DEP_1)
	v_cndmask_b32_e64 v1, v1, v3, s5
	v_add_f64_e32 v[3:4], v[1:2], v[229:230]
	s_delay_alu instid0(VALU_DEP_1) | instskip(NEXT) | instid1(VALU_DEP_2)
	v_cndmask_b32_e64 v2, v2, v4, s6
	v_cndmask_b32_e64 v1, v1, v3, s6
	s_delay_alu instid0(VALU_DEP_1) | instskip(NEXT) | instid1(VALU_DEP_1)
	v_add_f64_e32 v[3:4], v[1:2], v[231:232]
	v_cndmask_b32_e64 v2, v2, v4, s7
	s_delay_alu instid0(VALU_DEP_2) | instskip(NEXT) | instid1(VALU_DEP_1)
	v_cndmask_b32_e64 v1, v1, v3, s7
	v_add_f64_e32 v[3:4], v[1:2], v[233:234]
	s_delay_alu instid0(VALU_DEP_1) | instskip(NEXT) | instid1(VALU_DEP_2)
	v_cndmask_b32_e64 v2, v2, v4, s8
	v_cndmask_b32_e64 v1, v1, v3, s8
	s_delay_alu instid0(VALU_DEP_1) | instskip(NEXT) | instid1(VALU_DEP_1)
	v_add_f64_e32 v[3:4], v[1:2], v[235:236]
	v_cndmask_b32_e64 v2, v2, v4, s9
	s_delay_alu instid0(VALU_DEP_2) | instskip(NEXT) | instid1(VALU_DEP_1)
	v_cndmask_b32_e64 v1, v1, v3, s9
	v_add_f64_e32 v[3:4], v[1:2], v[237:238]
	s_delay_alu instid0(VALU_DEP_1) | instskip(NEXT) | instid1(VALU_DEP_2)
	v_cndmask_b32_e64 v2, v2, v4, s10
	v_cndmask_b32_e64 v1, v1, v3, s10
	s_delay_alu instid0(VALU_DEP_1) | instskip(NEXT) | instid1(VALU_DEP_1)
	v_add_f64_e32 v[3:4], v[1:2], v[239:240]
	v_cndmask_b32_e64 v2, v2, v4, s11
	s_delay_alu instid0(VALU_DEP_2) | instskip(NEXT) | instid1(VALU_DEP_1)
	v_cndmask_b32_e64 v1, v1, v3, s11
	v_add_f64_e32 v[3:4], v[1:2], v[241:242]
	s_delay_alu instid0(VALU_DEP_1) | instskip(NEXT) | instid1(VALU_DEP_2)
	v_cndmask_b32_e64 v2, v2, v4, s12
	v_cndmask_b32_e64 v1, v1, v3, s12
	s_delay_alu instid0(VALU_DEP_1) | instskip(NEXT) | instid1(VALU_DEP_1)
	v_add_f64_e32 v[3:4], v[1:2], v[243:244]
	v_cndmask_b32_e64 v2, v2, v4, s13
	s_delay_alu instid0(VALU_DEP_2) | instskip(NEXT) | instid1(VALU_DEP_1)
	v_cndmask_b32_e64 v1, v1, v3, s13
	v_add_f64_e32 v[3:4], v[1:2], v[245:246]
	s_delay_alu instid0(VALU_DEP_1) | instskip(NEXT) | instid1(VALU_DEP_2)
	v_cndmask_b32_e64 v2, v2, v4, s14
	v_cndmask_b32_e64 v1, v1, v3, s14
	s_delay_alu instid0(VALU_DEP_1) | instskip(NEXT) | instid1(VALU_DEP_1)
	v_add_f64_e32 v[3:4], v[1:2], v[247:248]
	v_cndmask_b32_e64 v2, v2, v4, s15
	s_delay_alu instid0(VALU_DEP_2) | instskip(NEXT) | instid1(VALU_DEP_1)
	v_cndmask_b32_e64 v1, v1, v3, s15
	v_add_f64_e32 v[3:4], v[1:2], v[249:250]
	s_delay_alu instid0(VALU_DEP_1) | instskip(NEXT) | instid1(VALU_DEP_2)
	v_cndmask_b32_e64 v2, v2, v4, s16
	v_cndmask_b32_e64 v1, v1, v3, s16
	s_delay_alu instid0(VALU_DEP_1) | instskip(NEXT) | instid1(VALU_DEP_1)
	v_add_f64_e32 v[3:4], v[1:2], v[251:252]
	v_cndmask_b32_e64 v2, v2, v4, s17
	s_delay_alu instid0(VALU_DEP_2) | instskip(NEXT) | instid1(VALU_DEP_1)
	v_cndmask_b32_e64 v1, v1, v3, s17
	v_add_f64_e32 v[3:4], v[1:2], v[5:6]
	v_add_nc_u32_e32 v6, 1, v253
	s_delay_alu instid0(VALU_DEP_2) | instskip(NEXT) | instid1(VALU_DEP_3)
	v_cndmask_b32_e64 v2, v2, v4, s18
	v_cndmask_b32_e64 v1, v1, v3, s18
	s_delay_alu instid0(VALU_DEP_1) | instskip(NEXT) | instid1(VALU_DEP_1)
	v_add_f64_e32 v[3:4], v[1:2], v[7:8]
	v_dual_cndmask_b32 v2, v2, v4 :: v_dual_cndmask_b32 v1, v1, v3
	v_cmp_ne_u32_e32 vcc_lo, 31, v253
	s_delay_alu instid0(VALU_DEP_2) | instskip(SKIP_2) | instid1(VALU_DEP_1)
	v_add_f64_e32 v[3:4], v[1:2], v[9:10]
	s_wait_alu 0xfffd
	v_add_co_ci_u32_e32 v5, vcc_lo, 0, v253, vcc_lo
	v_lshlrev_b32_e32 v5, 2, v5
	s_delay_alu instid0(VALU_DEP_3) | instskip(NEXT) | instid1(VALU_DEP_4)
	v_cndmask_b32_e64 v3, v1, v3, s19
	v_cndmask_b32_e64 v4, v2, v4, s19
	ds_bpermute_b32 v1, v5, v3
	ds_bpermute_b32 v2, v5, v4
	v_and_b32_e32 v5, 0xe0, v0
	s_wait_alu 0xfffe
	s_delay_alu instid0(VALU_DEP_1) | instskip(NEXT) | instid1(VALU_DEP_1)
	v_sub_nc_u32_e64 v5, s0, v5 clamp
	v_cmpx_lt_u32_e64 v6, v5
	s_cbranch_execz .LBB6_265
; %bb.264:
	s_wait_dscnt 0x0
	v_add_f64_e32 v[3:4], v[3:4], v[1:2]
.LBB6_265:
	s_or_b32 exec_lo, exec_lo, s1
	v_cmp_gt_u32_e32 vcc_lo, 30, v253
	v_add_nc_u32_e32 v6, 2, v253
	s_mov_b32 s1, exec_lo
	s_wait_dscnt 0x1
	s_wait_alu 0xfffd
	v_cndmask_b32_e64 v1, 0, 1, vcc_lo
	s_delay_alu instid0(VALU_DEP_1) | instskip(SKIP_1) | instid1(VALU_DEP_1)
	v_lshlrev_b32_e32 v1, 1, v1
	s_wait_dscnt 0x0
	v_add_lshl_u32 v2, v1, v253, 2
	ds_bpermute_b32 v1, v2, v3
	ds_bpermute_b32 v2, v2, v4
	v_cmpx_lt_u32_e64 v6, v5
	s_cbranch_execz .LBB6_267
; %bb.266:
	s_wait_dscnt 0x0
	v_add_f64_e32 v[3:4], v[3:4], v[1:2]
.LBB6_267:
	s_wait_alu 0xfffe
	s_or_b32 exec_lo, exec_lo, s1
	v_cmp_gt_u32_e32 vcc_lo, 28, v253
	v_add_nc_u32_e32 v6, 4, v253
	s_mov_b32 s1, exec_lo
	s_wait_dscnt 0x1
	s_wait_alu 0xfffd
	v_cndmask_b32_e64 v1, 0, 1, vcc_lo
	s_delay_alu instid0(VALU_DEP_1) | instskip(SKIP_1) | instid1(VALU_DEP_1)
	v_lshlrev_b32_e32 v1, 2, v1
	s_wait_dscnt 0x0
	v_add_lshl_u32 v2, v1, v253, 2
	ds_bpermute_b32 v1, v2, v3
	ds_bpermute_b32 v2, v2, v4
	v_cmpx_lt_u32_e64 v6, v5
	s_cbranch_execz .LBB6_269
; %bb.268:
	s_wait_dscnt 0x0
	v_add_f64_e32 v[3:4], v[3:4], v[1:2]
.LBB6_269:
	s_wait_alu 0xfffe
	;; [unrolled: 20-line block ×4, first 2 shown]
	s_or_b32 exec_lo, exec_lo, s1
	s_delay_alu instid0(SALU_CYCLE_1)
	s_mov_b32 s1, exec_lo
	v_cmpx_eq_u32_e32 0, v253
	s_cbranch_execz .LBB6_275
; %bb.274:
	s_wait_dscnt 0x1
	v_lshrrev_b32_e32 v1, 2, v0
	s_delay_alu instid0(VALU_DEP_1)
	v_and_b32_e32 v1, 56, v1
	ds_store_b64 v1, v[3:4] offset:64
.LBB6_275:
	s_wait_alu 0xfffe
	s_or_b32 exec_lo, exec_lo, s1
	s_delay_alu instid0(SALU_CYCLE_1)
	s_mov_b32 s1, exec_lo
	global_wb scope:SCOPE_SE
	s_wait_storecnt_dscnt 0x0
	s_barrier_signal -1
	s_barrier_wait -1
	global_inv scope:SCOPE_SE
	v_cmpx_gt_u32_e32 8, v0
	s_cbranch_execz .LBB6_283
; %bb.276:
	v_lshlrev_b32_e32 v1, 3, v253
	v_and_b32_e32 v5, 7, v253
	s_add_co_i32 s0, s0, 31
	s_mov_b32 s2, exec_lo
	s_wait_alu 0xfffe
	s_lshr_b32 s0, s0, 5
	ds_load_b64 v[3:4], v1 offset:64
	v_cmp_ne_u32_e32 vcc_lo, 7, v5
	v_add_nc_u32_e32 v6, 1, v5
	s_wait_alu 0xfffd
	v_add_co_ci_u32_e32 v1, vcc_lo, 0, v253, vcc_lo
	s_delay_alu instid0(VALU_DEP_1)
	v_lshlrev_b32_e32 v2, 2, v1
	s_wait_dscnt 0x0
	ds_bpermute_b32 v1, v2, v3
	ds_bpermute_b32 v2, v2, v4
	s_wait_alu 0xfffe
	v_cmpx_gt_u32_e64 s0, v6
	s_cbranch_execz .LBB6_278
; %bb.277:
	s_wait_dscnt 0x0
	v_add_f64_e32 v[3:4], v[3:4], v[1:2]
.LBB6_278:
	s_or_b32 exec_lo, exec_lo, s2
	v_cmp_gt_u32_e32 vcc_lo, 6, v5
	v_add_nc_u32_e32 v6, 2, v5
	s_mov_b32 s2, exec_lo
	s_wait_dscnt 0x1
	s_wait_alu 0xfffd
	v_cndmask_b32_e64 v1, 0, 1, vcc_lo
	s_delay_alu instid0(VALU_DEP_1) | instskip(SKIP_1) | instid1(VALU_DEP_1)
	v_lshlrev_b32_e32 v1, 1, v1
	s_wait_dscnt 0x0
	v_add_lshl_u32 v2, v1, v253, 2
	ds_bpermute_b32 v1, v2, v3
	ds_bpermute_b32 v2, v2, v4
	v_cmpx_gt_u32_e64 s0, v6
	s_cbranch_execz .LBB6_280
; %bb.279:
	s_wait_dscnt 0x0
	v_add_f64_e32 v[3:4], v[3:4], v[1:2]
.LBB6_280:
	s_wait_alu 0xfffe
	s_or_b32 exec_lo, exec_lo, s2
	v_cmp_gt_u32_e32 vcc_lo, 4, v5
	v_add_nc_u32_e32 v5, 4, v5
	s_wait_dscnt 0x1
	s_wait_alu 0xfffd
	v_cndmask_b32_e64 v1, 0, 1, vcc_lo
	s_delay_alu instid0(VALU_DEP_2) | instskip(NEXT) | instid1(VALU_DEP_2)
	v_cmp_gt_u32_e32 vcc_lo, s0, v5
	v_lshlrev_b32_e32 v1, 2, v1
	s_wait_dscnt 0x0
	s_delay_alu instid0(VALU_DEP_1)
	v_add_lshl_u32 v2, v1, v253, 2
	ds_bpermute_b32 v1, v2, v3
	ds_bpermute_b32 v2, v2, v4
	s_and_saveexec_b32 s0, vcc_lo
	s_cbranch_execz .LBB6_282
; %bb.281:
	s_wait_dscnt 0x0
	v_add_f64_e32 v[3:4], v[3:4], v[1:2]
.LBB6_282:
	s_wait_alu 0xfffe
	s_or_b32 exec_lo, exec_lo, s0
.LBB6_283:
	s_wait_alu 0xfffe
	s_or_b32 exec_lo, exec_lo, s1
.LBB6_284:
	s_delay_alu instid0(SALU_CYCLE_1)
	s_mov_b32 s0, exec_lo
	v_cmpx_eq_u32_e32 0, v0
	s_cbranch_execz .LBB6_286
; %bb.285:
	v_readlane_b32 s0, v254, 0
	v_readlane_b32 s6, v254, 6
	;; [unrolled: 1-line block ×6, first 2 shown]
	s_lshl_b64 s[0:1], s[20:21], 3
	s_wait_dscnt 0x1
	s_wait_alu 0xf1ff
	v_add_f64_e32 v[0:1], s[6:7], v[3:4]
	v_readlane_b32 s4, v254, 4
	s_cmp_eq_u64 s[2:3], 0
	v_readlane_b32 s5, v254, 5
	s_cselect_b32 s2, -1, 0
	s_wait_dscnt 0x0
	v_mov_b32_e32 v2, 0
	s_wait_alu 0xfffe
	s_add_nc_u64 s[0:1], s[4:5], s[0:1]
	s_delay_alu instid0(VALU_DEP_4)
	v_cndmask_b32_e64 v1, v1, s7, s2
	v_cndmask_b32_e64 v0, v0, s6, s2
	global_store_b64 v2, v[0:1], s[0:1]
.LBB6_286:
	s_nop 0
	s_sendmsg sendmsg(MSG_DEALLOC_VGPRS)
	s_endpgm
	.section	.rodata,"a",@progbits
	.p2align	6, 0x0
	.amdhsa_kernel _ZN7rocprim6detail19block_reduce_kernelILb1ELb1ELj8ENS0_21wrapped_reduce_configINS_14default_configEdEEdPdS5_dN6thrust4plusIdEEEEvT4_mT5_T6_T7_
		.amdhsa_group_segment_fixed_size 128
		.amdhsa_private_segment_fixed_size 28
		.amdhsa_kernarg_size 36
		.amdhsa_user_sgpr_count 2
		.amdhsa_user_sgpr_dispatch_ptr 0
		.amdhsa_user_sgpr_queue_ptr 0
		.amdhsa_user_sgpr_kernarg_segment_ptr 1
		.amdhsa_user_sgpr_dispatch_id 0
		.amdhsa_user_sgpr_private_segment_size 0
		.amdhsa_wavefront_size32 1
		.amdhsa_uses_dynamic_stack 0
		.amdhsa_enable_private_segment 1
		.amdhsa_system_sgpr_workgroup_id_x 1
		.amdhsa_system_sgpr_workgroup_id_y 0
		.amdhsa_system_sgpr_workgroup_id_z 0
		.amdhsa_system_sgpr_workgroup_info 0
		.amdhsa_system_vgpr_workitem_id 0
		.amdhsa_next_free_vgpr 256
		.amdhsa_next_free_sgpr 105
		.amdhsa_reserve_vcc 1
		.amdhsa_float_round_mode_32 0
		.amdhsa_float_round_mode_16_64 0
		.amdhsa_float_denorm_mode_32 3
		.amdhsa_float_denorm_mode_16_64 3
		.amdhsa_fp16_overflow 0
		.amdhsa_workgroup_processor_mode 1
		.amdhsa_memory_ordered 1
		.amdhsa_forward_progress 0
		.amdhsa_round_robin_scheduling 0
		.amdhsa_exception_fp_ieee_invalid_op 0
		.amdhsa_exception_fp_denorm_src 0
		.amdhsa_exception_fp_ieee_div_zero 0
		.amdhsa_exception_fp_ieee_overflow 0
		.amdhsa_exception_fp_ieee_underflow 0
		.amdhsa_exception_fp_ieee_inexact 0
		.amdhsa_exception_int_div_zero 0
	.end_amdhsa_kernel
	.section	.text._ZN7rocprim6detail19block_reduce_kernelILb1ELb1ELj8ENS0_21wrapped_reduce_configINS_14default_configEdEEdPdS5_dN6thrust4plusIdEEEEvT4_mT5_T6_T7_,"axG",@progbits,_ZN7rocprim6detail19block_reduce_kernelILb1ELb1ELj8ENS0_21wrapped_reduce_configINS_14default_configEdEEdPdS5_dN6thrust4plusIdEEEEvT4_mT5_T6_T7_,comdat
.Lfunc_end6:
	.size	_ZN7rocprim6detail19block_reduce_kernelILb1ELb1ELj8ENS0_21wrapped_reduce_configINS_14default_configEdEEdPdS5_dN6thrust4plusIdEEEEvT4_mT5_T6_T7_, .Lfunc_end6-_ZN7rocprim6detail19block_reduce_kernelILb1ELb1ELj8ENS0_21wrapped_reduce_configINS_14default_configEdEEdPdS5_dN6thrust4plusIdEEEEvT4_mT5_T6_T7_
                                        ; -- End function
	.section	.AMDGPU.csdata,"",@progbits
; Kernel info:
; codeLenInByte = 14352
; NumSgprs: 107
; NumVgprs: 256
; ScratchSize: 28
; MemoryBound: 1
; FloatMode: 240
; IeeeMode: 1
; LDSByteSize: 128 bytes/workgroup (compile time only)
; SGPRBlocks: 13
; VGPRBlocks: 31
; NumSGPRsForWavesPerEU: 107
; NumVGPRsForWavesPerEU: 256
; Occupancy: 5
; WaveLimiterHint : 1
; COMPUTE_PGM_RSRC2:SCRATCH_EN: 1
; COMPUTE_PGM_RSRC2:USER_SGPR: 2
; COMPUTE_PGM_RSRC2:TRAP_HANDLER: 0
; COMPUTE_PGM_RSRC2:TGID_X_EN: 1
; COMPUTE_PGM_RSRC2:TGID_Y_EN: 0
; COMPUTE_PGM_RSRC2:TGID_Z_EN: 0
; COMPUTE_PGM_RSRC2:TIDIG_COMP_CNT: 0
	.section	.text._ZN7rocprim6detail19block_reduce_kernelILb1ELb1ELj16ENS0_21wrapped_reduce_configINS_14default_configEdEEdPdS5_dN6thrust4plusIdEEEEvT4_mT5_T6_T7_,"axG",@progbits,_ZN7rocprim6detail19block_reduce_kernelILb1ELb1ELj16ENS0_21wrapped_reduce_configINS_14default_configEdEEdPdS5_dN6thrust4plusIdEEEEvT4_mT5_T6_T7_,comdat
	.protected	_ZN7rocprim6detail19block_reduce_kernelILb1ELb1ELj16ENS0_21wrapped_reduce_configINS_14default_configEdEEdPdS5_dN6thrust4plusIdEEEEvT4_mT5_T6_T7_ ; -- Begin function _ZN7rocprim6detail19block_reduce_kernelILb1ELb1ELj16ENS0_21wrapped_reduce_configINS_14default_configEdEEdPdS5_dN6thrust4plusIdEEEEvT4_mT5_T6_T7_
	.globl	_ZN7rocprim6detail19block_reduce_kernelILb1ELb1ELj16ENS0_21wrapped_reduce_configINS_14default_configEdEEdPdS5_dN6thrust4plusIdEEEEvT4_mT5_T6_T7_
	.p2align	8
	.type	_ZN7rocprim6detail19block_reduce_kernelILb1ELb1ELj16ENS0_21wrapped_reduce_configINS_14default_configEdEEdPdS5_dN6thrust4plusIdEEEEvT4_mT5_T6_T7_,@function
_ZN7rocprim6detail19block_reduce_kernelILb1ELb1ELj16ENS0_21wrapped_reduce_configINS_14default_configEdEEdPdS5_dN6thrust4plusIdEEEEvT4_mT5_T6_T7_: ; @_ZN7rocprim6detail19block_reduce_kernelILb1ELb1ELj16ENS0_21wrapped_reduce_configINS_14default_configEdEEdPdS5_dN6thrust4plusIdEEEEvT4_mT5_T6_T7_
; %bb.0:
	s_load_b256 s[12:19], s[0:1], 0x0
                                        ; implicit-def: $vgpr250 : SGPR spill to VGPR lane
	s_mov_b32 s1, 0
	s_lshl_b32 s0, ttmp9, 16
	s_mov_b32 s20, ttmp9
	v_lshlrev_b32_e32 v1, 3, v0
	s_mov_b32 s21, s1
	s_lshl_b64 s[2:3], s[0:1], 3
	s_wait_kmcnt 0x0
	s_lshr_b64 s[4:5], s[14:15], 16
	s_mov_b64 s[8:9], s[16:17]
	s_mov_b64 s[10:11], s[18:19]
	;; [unrolled: 1-line block ×3, first 2 shown]
	v_writelane_b32 v250, s4, 0
	s_add_nc_u64 s[2:3], s[12:13], s[2:3]
	s_delay_alu instid0(SALU_CYCLE_1)
	v_add_co_u32 v1, s1, s2, v1
	v_writelane_b32 v250, s5, 1
	v_add_co_ci_u32_e64 v2, null, s3, 0, s1
	v_writelane_b32 v250, s6, 2
	v_writelane_b32 v250, s7, 3
	;; [unrolled: 1-line block ×7, first 2 shown]
	s_cmp_lg_u64 s[4:5], s[20:21]
	v_writelane_b32 v250, s21, 9
	s_cbranch_scc0 .LBB7_6
; %bb.1:
	s_clause 0x9
	global_load_b64 v[3:4], v[1:2], off
	global_load_b64 v[5:6], v[1:2], off offset:2048
	global_load_b64 v[7:8], v[1:2], off offset:4096
	;; [unrolled: 1-line block ×9, first 2 shown]
	s_mov_b32 s1, exec_lo
	s_wait_loadcnt 0x8
	v_add_f64_e32 v[3:4], v[3:4], v[5:6]
	global_load_b64 v[5:6], v[1:2], off offset:20480
	s_wait_loadcnt 0x8
	v_add_f64_e32 v[3:4], v[3:4], v[7:8]
	global_load_b64 v[7:8], v[1:2], off offset:22528
	;; [unrolled: 3-line block ×246, first 2 shown]
	s_wait_loadcnt 0x8
	v_add_f64_e32 v[3:4], v[11:12], v[3:4]
	s_wait_loadcnt 0x7
	s_delay_alu instid0(VALU_DEP_1) | instskip(SKIP_1) | instid1(VALU_DEP_1)
	v_add_f64_e32 v[3:4], v[13:14], v[3:4]
	s_wait_loadcnt 0x6
	v_add_f64_e32 v[3:4], v[15:16], v[3:4]
	s_wait_loadcnt 0x5
	s_delay_alu instid0(VALU_DEP_1) | instskip(SKIP_1) | instid1(VALU_DEP_1)
	v_add_f64_e32 v[3:4], v[17:18], v[3:4]
	;; [unrolled: 5-line block ×4, first 2 shown]
	s_wait_loadcnt 0x0
	v_add_f64_e32 v[3:4], v[9:10], v[3:4]
	s_delay_alu instid0(VALU_DEP_1) | instskip(NEXT) | instid1(VALU_DEP_2)
	v_mov_b32_dpp v5, v3 quad_perm:[1,0,3,2] row_mask:0xf bank_mask:0xf
	v_mov_b32_dpp v6, v4 quad_perm:[1,0,3,2] row_mask:0xf bank_mask:0xf
	s_delay_alu instid0(VALU_DEP_1) | instskip(NEXT) | instid1(VALU_DEP_1)
	v_add_f64_e32 v[3:4], v[3:4], v[5:6]
	v_mov_b32_dpp v5, v3 quad_perm:[2,3,0,1] row_mask:0xf bank_mask:0xf
	s_delay_alu instid0(VALU_DEP_2) | instskip(NEXT) | instid1(VALU_DEP_1)
	v_mov_b32_dpp v6, v4 quad_perm:[2,3,0,1] row_mask:0xf bank_mask:0xf
	v_add_f64_e32 v[3:4], v[3:4], v[5:6]
	s_delay_alu instid0(VALU_DEP_1) | instskip(NEXT) | instid1(VALU_DEP_2)
	v_mov_b32_dpp v5, v3 row_ror:4 row_mask:0xf bank_mask:0xf
	v_mov_b32_dpp v6, v4 row_ror:4 row_mask:0xf bank_mask:0xf
	s_delay_alu instid0(VALU_DEP_1) | instskip(NEXT) | instid1(VALU_DEP_1)
	v_add_f64_e32 v[3:4], v[3:4], v[5:6]
	v_mov_b32_dpp v5, v3 row_ror:8 row_mask:0xf bank_mask:0xf
	s_delay_alu instid0(VALU_DEP_2) | instskip(NEXT) | instid1(VALU_DEP_1)
	v_mov_b32_dpp v6, v4 row_ror:8 row_mask:0xf bank_mask:0xf
	v_add_f64_e32 v[3:4], v[3:4], v[5:6]
	ds_swizzle_b32 v5, v3 offset:swizzle(BROADCAST,32,15)
	ds_swizzle_b32 v6, v4 offset:swizzle(BROADCAST,32,15)
	s_wait_dscnt 0x0
	v_add_f64_e32 v[3:4], v[3:4], v[5:6]
	v_mov_b32_e32 v5, 0
	ds_bpermute_b32 v3, v5, v3 offset:124
	ds_bpermute_b32 v4, v5, v4 offset:124
	v_mbcnt_lo_u32_b32 v5, -1, 0
	s_delay_alu instid0(VALU_DEP_1)
	v_cmpx_eq_u32_e32 0, v5
	s_cbranch_execz .LBB7_3
; %bb.2:
	v_lshrrev_b32_e32 v6, 2, v0
	s_delay_alu instid0(VALU_DEP_1)
	v_and_b32_e32 v6, 56, v6
	s_wait_dscnt 0x0
	ds_store_b64 v6, v[3:4]
.LBB7_3:
	s_wait_alu 0xfffe
	s_or_b32 exec_lo, exec_lo, s1
	s_delay_alu instid0(SALU_CYCLE_1)
	s_mov_b32 s1, exec_lo
	global_wb scope:SCOPE_SE
	s_wait_dscnt 0x0
	s_barrier_signal -1
	s_barrier_wait -1
	global_inv scope:SCOPE_SE
	v_cmpx_gt_u32_e32 32, v0
	s_cbranch_execz .LBB7_5
; %bb.4:
	v_and_b32_e32 v8, 7, v5
	s_delay_alu instid0(VALU_DEP_1) | instskip(SKIP_4) | instid1(VALU_DEP_2)
	v_lshlrev_b32_e32 v3, 3, v8
	v_cmp_ne_u32_e32 vcc_lo, 7, v8
	ds_load_b64 v[3:4], v3
	v_add_co_ci_u32_e32 v6, vcc_lo, 0, v5, vcc_lo
	v_cmp_gt_u32_e32 vcc_lo, 6, v8
	v_lshlrev_b32_e32 v7, 2, v6
	s_wait_dscnt 0x0
	ds_bpermute_b32 v6, v7, v3
	ds_bpermute_b32 v7, v7, v4
	s_wait_dscnt 0x0
	v_add_f64_e32 v[3:4], v[3:4], v[6:7]
	s_wait_alu 0xfffd
	v_cndmask_b32_e64 v6, 0, 1, vcc_lo
	v_cmp_gt_u32_e32 vcc_lo, 4, v8
	s_delay_alu instid0(VALU_DEP_2) | instskip(NEXT) | instid1(VALU_DEP_1)
	v_lshlrev_b32_e32 v6, 1, v6
	v_add_lshl_u32 v7, v6, v5, 2
	ds_bpermute_b32 v6, v7, v3
	ds_bpermute_b32 v7, v7, v4
	s_wait_dscnt 0x0
	v_add_f64_e32 v[3:4], v[3:4], v[6:7]
	s_wait_alu 0xfffd
	v_cndmask_b32_e64 v6, 0, 1, vcc_lo
	s_delay_alu instid0(VALU_DEP_1) | instskip(NEXT) | instid1(VALU_DEP_1)
	v_lshlrev_b32_e32 v6, 2, v6
	v_add_lshl_u32 v6, v6, v5, 2
	ds_bpermute_b32 v5, v6, v3
	ds_bpermute_b32 v6, v6, v4
	s_wait_dscnt 0x0
	v_add_f64_e32 v[3:4], v[3:4], v[5:6]
.LBB7_5:
	s_wait_alu 0xfffe
	s_or_b32 exec_lo, exec_lo, s1
	s_branch .LBB7_540
.LBB7_6:
                                        ; implicit-def: $vgpr3_vgpr4
	s_cbranch_execz .LBB7_540
; %bb.7:
	s_delay_alu instid0(VALU_DEP_1)
	v_readlane_b32 s4, v250, 0
	v_readlane_b32 s6, v250, 2
	;; [unrolled: 1-line block ×6, first 2 shown]
	s_sub_co_i32 s44, s6, s0
	s_mov_b32 s0, exec_lo
	v_readlane_b32 s10, v250, 6
	v_readlane_b32 s11, v250, 7
                                        ; implicit-def: $vgpr3_vgpr4
	v_cmpx_gt_u32_e64 s44, v0
	s_cbranch_execz .LBB7_9
; %bb.8:
	global_load_b64 v[3:4], v[1:2], off
.LBB7_9:
	s_wait_alu 0xfffe
	s_or_b32 exec_lo, exec_lo, s0
	v_or_b32_e32 v5, 0x100, v0
	s_delay_alu instid0(VALU_DEP_1) | instskip(SKIP_1) | instid1(VALU_DEP_1)
	v_cmp_gt_u32_e64 s1, s44, v5
                                        ; implicit-def: $vgpr5_vgpr6
                                        ; kill: killed $vgpr5_vgpr6
	s_wait_alu 0xf1ff
	v_writelane_b32 v250, s1, 10
	s_and_saveexec_b32 s0, s1
	s_cbranch_execz .LBB7_11
; %bb.10:
	global_load_b64 v[5:6], v[1:2], off offset:2048
	s_wait_loadcnt 0x0
	scratch_store_b64 off, v[5:6], off      ; 8-byte Folded Spill
.LBB7_11:
	s_wait_alu 0xfffe
	s_or_b32 exec_lo, exec_lo, s0
	v_or_b32_e32 v5, 0x200, v0
	s_delay_alu instid0(VALU_DEP_1) | instskip(SKIP_1) | instid1(VALU_DEP_1)
	v_cmp_gt_u32_e64 s1, s44, v5
                                        ; implicit-def: $vgpr5_vgpr6
                                        ; kill: killed $vgpr5_vgpr6
	s_wait_alu 0xf1ff
	v_writelane_b32 v250, s1, 11
	s_and_saveexec_b32 s0, s1
	s_cbranch_execz .LBB7_13
; %bb.12:
	global_load_b64 v[5:6], v[1:2], off offset:4096
	s_wait_loadcnt 0x0
	scratch_store_b64 off, v[5:6], off offset:8 ; 8-byte Folded Spill
.LBB7_13:
	s_wait_alu 0xfffe
	s_or_b32 exec_lo, exec_lo, s0
	v_or_b32_e32 v5, 0x300, v0
	s_delay_alu instid0(VALU_DEP_1) | instskip(SKIP_1) | instid1(VALU_DEP_1)
	v_cmp_gt_u32_e64 s1, s44, v5
                                        ; implicit-def: $vgpr5_vgpr6
                                        ; kill: killed $vgpr5_vgpr6
	s_wait_alu 0xf1ff
	v_writelane_b32 v250, s1, 12
	s_and_saveexec_b32 s0, s1
	s_cbranch_execz .LBB7_15
; %bb.14:
	global_load_b64 v[5:6], v[1:2], off offset:6144
	s_wait_loadcnt 0x0
	scratch_store_b64 off, v[5:6], off offset:16 ; 8-byte Folded Spill
.LBB7_15:
	;; [unrolled: 16-line block ×21, first 2 shown]
	s_wait_alu 0xfffe
	s_or_b32 exec_lo, exec_lo, s0
	v_or_b32_e32 v5, 0x1700, v0
                                        ; implicit-def: $vgpr251 : SGPR spill to VGPR lane
	s_delay_alu instid0(VALU_DEP_1) | instskip(SKIP_1) | instid1(VALU_DEP_1)
	v_cmp_gt_u32_e64 s1, s44, v5
                                        ; implicit-def: $vgpr5_vgpr6
                                        ; kill: killed $vgpr5_vgpr6
	s_wait_alu 0xf1ff
	v_writelane_b32 v251, s1, 0
	s_and_saveexec_b32 s0, s1
	s_cbranch_execz .LBB7_55
; %bb.54:
	global_load_b64 v[5:6], v[1:2], off offset:47104
	s_wait_loadcnt 0x0
	scratch_store_b64 off, v[5:6], off offset:176 ; 8-byte Folded Spill
.LBB7_55:
	s_wait_alu 0xfffe
	s_or_b32 exec_lo, exec_lo, s0
	v_or_b32_e32 v5, 0x1800, v0
	s_delay_alu instid0(VALU_DEP_1) | instskip(SKIP_1) | instid1(VALU_DEP_1)
	v_cmp_gt_u32_e64 s1, s44, v5
                                        ; implicit-def: $vgpr5_vgpr6
                                        ; kill: killed $vgpr5_vgpr6
	s_wait_alu 0xf1ff
	v_writelane_b32 v251, s1, 1
	s_and_saveexec_b32 s0, s1
	s_cbranch_execz .LBB7_57
; %bb.56:
	global_load_b64 v[5:6], v[1:2], off offset:49152
	s_wait_loadcnt 0x0
	scratch_store_b64 off, v[5:6], off offset:184 ; 8-byte Folded Spill
.LBB7_57:
	s_wait_alu 0xfffe
	s_or_b32 exec_lo, exec_lo, s0
	v_or_b32_e32 v5, 0x1900, v0
	;; [unrolled: 16-line block ×32, first 2 shown]
                                        ; implicit-def: $vgpr252 : SGPR spill to VGPR lane
	s_delay_alu instid0(VALU_DEP_1) | instskip(SKIP_1) | instid1(VALU_DEP_1)
	v_cmp_gt_u32_e64 s1, s44, v5
                                        ; implicit-def: $vgpr5_vgpr6
                                        ; kill: killed $vgpr5_vgpr6
	s_wait_alu 0xf1ff
	v_writelane_b32 v252, s1, 0
	s_and_saveexec_b32 s0, s1
	s_cbranch_execz .LBB7_119
; %bb.118:
	global_load_b64 v[5:6], v[1:2], off offset:112640
	s_wait_loadcnt 0x0
	scratch_store_b64 off, v[5:6], off offset:432 ; 8-byte Folded Spill
.LBB7_119:
	s_wait_alu 0xfffe
	s_or_b32 exec_lo, exec_lo, s0
	v_or_b32_e32 v5, 0x3800, v0
	s_delay_alu instid0(VALU_DEP_1) | instskip(SKIP_1) | instid1(VALU_DEP_1)
	v_cmp_gt_u32_e64 s1, s44, v5
                                        ; implicit-def: $vgpr5_vgpr6
                                        ; kill: killed $vgpr5_vgpr6
	s_wait_alu 0xf1ff
	v_writelane_b32 v252, s1, 1
	s_and_saveexec_b32 s0, s1
	s_cbranch_execz .LBB7_121
; %bb.120:
	global_load_b64 v[5:6], v[1:2], off offset:114688
	s_wait_loadcnt 0x0
	scratch_store_b64 off, v[5:6], off offset:440 ; 8-byte Folded Spill
.LBB7_121:
	s_wait_alu 0xfffe
	s_or_b32 exec_lo, exec_lo, s0
	v_or_b32_e32 v5, 0x3900, v0
	;; [unrolled: 16-line block ×32, first 2 shown]
                                        ; implicit-def: $vgpr253 : SGPR spill to VGPR lane
	s_delay_alu instid0(VALU_DEP_1) | instskip(SKIP_1) | instid1(VALU_DEP_1)
	v_cmp_gt_u32_e64 s1, s44, v5
                                        ; implicit-def: $vgpr5_vgpr6
                                        ; kill: killed $vgpr5_vgpr6
	s_wait_alu 0xf1ff
	v_writelane_b32 v253, s1, 0
	s_and_saveexec_b32 s0, s1
	s_cbranch_execz .LBB7_183
; %bb.182:
	global_load_b64 v[5:6], v[1:2], off offset:178176
	s_wait_loadcnt 0x0
	scratch_store_b64 off, v[5:6], off offset:688 ; 8-byte Folded Spill
.LBB7_183:
	s_wait_alu 0xfffe
	s_or_b32 exec_lo, exec_lo, s0
	v_or_b32_e32 v5, 0x5800, v0
	s_delay_alu instid0(VALU_DEP_1) | instskip(SKIP_1) | instid1(VALU_DEP_1)
	v_cmp_gt_u32_e64 s1, s44, v5
                                        ; implicit-def: $vgpr5_vgpr6
                                        ; kill: killed $vgpr5_vgpr6
	s_wait_alu 0xf1ff
	v_writelane_b32 v253, s1, 1
	s_and_saveexec_b32 s0, s1
	s_cbranch_execz .LBB7_185
; %bb.184:
	global_load_b64 v[5:6], v[1:2], off offset:180224
	s_wait_loadcnt 0x0
	scratch_store_b64 off, v[5:6], off offset:696 ; 8-byte Folded Spill
.LBB7_185:
	s_wait_alu 0xfffe
	s_or_b32 exec_lo, exec_lo, s0
	v_or_b32_e32 v5, 0x5900, v0
	;; [unrolled: 16-line block ×32, first 2 shown]
                                        ; implicit-def: $vgpr254 : SGPR spill to VGPR lane
	s_delay_alu instid0(VALU_DEP_1) | instskip(SKIP_1) | instid1(VALU_DEP_1)
	v_cmp_gt_u32_e64 s1, s44, v5
                                        ; implicit-def: $vgpr5_vgpr6
                                        ; kill: killed $vgpr5_vgpr6
	s_wait_alu 0xf1ff
	v_writelane_b32 v254, s1, 0
	s_and_saveexec_b32 s0, s1
	s_cbranch_execz .LBB7_247
; %bb.246:
	global_load_b64 v[5:6], v[1:2], off offset:243712
	s_wait_loadcnt 0x0
	scratch_store_b64 off, v[5:6], off offset:944 ; 8-byte Folded Spill
.LBB7_247:
	s_wait_alu 0xfffe
	s_or_b32 exec_lo, exec_lo, s0
	v_or_b32_e32 v5, 0x7800, v0
	s_delay_alu instid0(VALU_DEP_1) | instskip(SKIP_1) | instid1(VALU_DEP_1)
	v_cmp_gt_u32_e64 s1, s44, v5
                                        ; implicit-def: $vgpr5_vgpr6
                                        ; kill: killed $vgpr5_vgpr6
	s_wait_alu 0xf1ff
	v_writelane_b32 v254, s1, 1
	s_and_saveexec_b32 s0, s1
	s_cbranch_execz .LBB7_249
; %bb.248:
	global_load_b64 v[5:6], v[1:2], off offset:245760
	s_wait_loadcnt 0x0
	scratch_store_b64 off, v[5:6], off offset:952 ; 8-byte Folded Spill
.LBB7_249:
	s_wait_alu 0xfffe
	s_or_b32 exec_lo, exec_lo, s0
	v_or_b32_e32 v5, 0x7900, v0
	;; [unrolled: 16-line block ×15, first 2 shown]
                                        ; implicit-def: $vgpr27_vgpr28
	s_delay_alu instid0(VALU_DEP_1) | instskip(SKIP_1) | instid1(VALU_DEP_1)
	v_cmp_gt_u32_e64 s1, s44, v5
	s_wait_alu 0xf1ff
	v_writelane_b32 v254, s1, 15
	s_and_saveexec_b32 s0, s1
	s_cbranch_execz .LBB7_277
; %bb.276:
	global_load_b64 v[27:28], v[1:2], off offset:274432
.LBB7_277:
	s_wait_alu 0xfffe
	s_or_b32 exec_lo, exec_lo, s0
	v_or_b32_e32 v5, 0x8700, v0
                                        ; implicit-def: $vgpr29_vgpr30
	s_delay_alu instid0(VALU_DEP_1) | instskip(SKIP_1) | instid1(VALU_DEP_1)
	v_cmp_gt_u32_e64 s1, s44, v5
	s_wait_alu 0xf1ff
	v_writelane_b32 v254, s1, 16
	s_and_saveexec_b32 s0, s1
	s_cbranch_execz .LBB7_279
; %bb.278:
	global_load_b64 v[29:30], v[1:2], off offset:276480
.LBB7_279:
	s_wait_alu 0xfffe
	s_or_b32 exec_lo, exec_lo, s0
	v_or_b32_e32 v5, 0x8800, v0
                                        ; implicit-def: $vgpr31_vgpr32
	s_delay_alu instid0(VALU_DEP_1) | instskip(SKIP_1) | instid1(VALU_DEP_1)
	v_cmp_gt_u32_e64 s1, s44, v5
	s_wait_alu 0xf1ff
	v_writelane_b32 v254, s1, 17
	s_and_saveexec_b32 s0, s1
	s_cbranch_execz .LBB7_281
; %bb.280:
	global_load_b64 v[31:32], v[1:2], off offset:278528
.LBB7_281:
	s_wait_alu 0xfffe
	s_or_b32 exec_lo, exec_lo, s0
	v_or_b32_e32 v5, 0x8900, v0
                                        ; implicit-def: $vgpr33_vgpr34
	s_delay_alu instid0(VALU_DEP_1) | instskip(SKIP_1) | instid1(VALU_DEP_1)
	v_cmp_gt_u32_e64 s1, s44, v5
	s_wait_alu 0xf1ff
	v_writelane_b32 v254, s1, 18
	s_and_saveexec_b32 s0, s1
	s_cbranch_execz .LBB7_283
; %bb.282:
	global_load_b64 v[33:34], v[1:2], off offset:280576
.LBB7_283:
	s_wait_alu 0xfffe
	s_or_b32 exec_lo, exec_lo, s0
	v_or_b32_e32 v5, 0x8a00, v0
                                        ; implicit-def: $vgpr35_vgpr36
	s_delay_alu instid0(VALU_DEP_1) | instskip(SKIP_1) | instid1(VALU_DEP_1)
	v_cmp_gt_u32_e64 s1, s44, v5
	s_wait_alu 0xf1ff
	v_writelane_b32 v254, s1, 19
	s_and_saveexec_b32 s0, s1
	s_cbranch_execz .LBB7_285
; %bb.284:
	global_load_b64 v[35:36], v[1:2], off offset:282624
.LBB7_285:
	s_wait_alu 0xfffe
	s_or_b32 exec_lo, exec_lo, s0
	v_or_b32_e32 v5, 0x8b00, v0
                                        ; implicit-def: $vgpr37_vgpr38
	s_delay_alu instid0(VALU_DEP_1) | instskip(SKIP_1) | instid1(VALU_DEP_1)
	v_cmp_gt_u32_e64 s1, s44, v5
	s_wait_alu 0xf1ff
	v_writelane_b32 v254, s1, 20
	s_and_saveexec_b32 s0, s1
	s_cbranch_execz .LBB7_287
; %bb.286:
	global_load_b64 v[37:38], v[1:2], off offset:284672
.LBB7_287:
	s_wait_alu 0xfffe
	s_or_b32 exec_lo, exec_lo, s0
	v_or_b32_e32 v5, 0x8c00, v0
                                        ; implicit-def: $vgpr39_vgpr40
	s_delay_alu instid0(VALU_DEP_1) | instskip(SKIP_1) | instid1(VALU_DEP_1)
	v_cmp_gt_u32_e64 s1, s44, v5
	s_wait_alu 0xf1ff
	v_writelane_b32 v254, s1, 21
	s_and_saveexec_b32 s0, s1
	s_cbranch_execz .LBB7_289
; %bb.288:
	global_load_b64 v[39:40], v[1:2], off offset:286720
.LBB7_289:
	s_wait_alu 0xfffe
	s_or_b32 exec_lo, exec_lo, s0
	v_or_b32_e32 v5, 0x8d00, v0
                                        ; implicit-def: $vgpr41_vgpr42
	s_delay_alu instid0(VALU_DEP_1) | instskip(SKIP_1) | instid1(VALU_DEP_1)
	v_cmp_gt_u32_e64 s1, s44, v5
	s_wait_alu 0xf1ff
	v_writelane_b32 v254, s1, 22
	s_and_saveexec_b32 s0, s1
	s_cbranch_execz .LBB7_291
; %bb.290:
	global_load_b64 v[41:42], v[1:2], off offset:288768
.LBB7_291:
	s_wait_alu 0xfffe
	s_or_b32 exec_lo, exec_lo, s0
	v_or_b32_e32 v5, 0x8e00, v0
                                        ; implicit-def: $vgpr43_vgpr44
	s_delay_alu instid0(VALU_DEP_1) | instskip(SKIP_1) | instid1(VALU_DEP_1)
	v_cmp_gt_u32_e64 s1, s44, v5
	s_wait_alu 0xf1ff
	v_writelane_b32 v254, s1, 23
	s_and_saveexec_b32 s0, s1
	s_cbranch_execz .LBB7_293
; %bb.292:
	global_load_b64 v[43:44], v[1:2], off offset:290816
.LBB7_293:
	s_wait_alu 0xfffe
	s_or_b32 exec_lo, exec_lo, s0
	v_or_b32_e32 v5, 0x8f00, v0
                                        ; implicit-def: $vgpr45_vgpr46
	s_delay_alu instid0(VALU_DEP_1) | instskip(SKIP_1) | instid1(VALU_DEP_1)
	v_cmp_gt_u32_e64 s1, s44, v5
	s_wait_alu 0xf1ff
	v_writelane_b32 v254, s1, 24
	s_and_saveexec_b32 s0, s1
	s_cbranch_execz .LBB7_295
; %bb.294:
	global_load_b64 v[45:46], v[1:2], off offset:292864
.LBB7_295:
	s_wait_alu 0xfffe
	s_or_b32 exec_lo, exec_lo, s0
	v_or_b32_e32 v5, 0x9000, v0
                                        ; implicit-def: $vgpr47_vgpr48
	s_delay_alu instid0(VALU_DEP_1) | instskip(SKIP_1) | instid1(VALU_DEP_1)
	v_cmp_gt_u32_e64 s1, s44, v5
	s_wait_alu 0xf1ff
	v_writelane_b32 v254, s1, 25
	s_and_saveexec_b32 s0, s1
	s_cbranch_execz .LBB7_297
; %bb.296:
	global_load_b64 v[47:48], v[1:2], off offset:294912
.LBB7_297:
	s_wait_alu 0xfffe
	s_or_b32 exec_lo, exec_lo, s0
	v_or_b32_e32 v5, 0x9100, v0
                                        ; implicit-def: $vgpr49_vgpr50
	s_delay_alu instid0(VALU_DEP_1) | instskip(SKIP_1) | instid1(VALU_DEP_1)
	v_cmp_gt_u32_e64 s1, s44, v5
	s_wait_alu 0xf1ff
	v_writelane_b32 v254, s1, 26
	s_and_saveexec_b32 s0, s1
	s_cbranch_execz .LBB7_299
; %bb.298:
	global_load_b64 v[49:50], v[1:2], off offset:296960
.LBB7_299:
	s_wait_alu 0xfffe
	s_or_b32 exec_lo, exec_lo, s0
	v_or_b32_e32 v5, 0x9200, v0
                                        ; implicit-def: $vgpr51_vgpr52
	s_delay_alu instid0(VALU_DEP_1) | instskip(SKIP_1) | instid1(VALU_DEP_1)
	v_cmp_gt_u32_e64 s1, s44, v5
	s_wait_alu 0xf1ff
	v_writelane_b32 v254, s1, 27
	s_and_saveexec_b32 s0, s1
	s_cbranch_execz .LBB7_301
; %bb.300:
	global_load_b64 v[51:52], v[1:2], off offset:299008
.LBB7_301:
	s_wait_alu 0xfffe
	s_or_b32 exec_lo, exec_lo, s0
	v_or_b32_e32 v5, 0x9300, v0
                                        ; implicit-def: $vgpr53_vgpr54
	s_delay_alu instid0(VALU_DEP_1) | instskip(SKIP_1) | instid1(VALU_DEP_1)
	v_cmp_gt_u32_e64 s1, s44, v5
	s_wait_alu 0xf1ff
	v_writelane_b32 v254, s1, 28
	s_and_saveexec_b32 s0, s1
	s_cbranch_execz .LBB7_303
; %bb.302:
	global_load_b64 v[53:54], v[1:2], off offset:301056
.LBB7_303:
	s_wait_alu 0xfffe
	s_or_b32 exec_lo, exec_lo, s0
	v_or_b32_e32 v5, 0x9400, v0
                                        ; implicit-def: $vgpr55_vgpr56
	s_delay_alu instid0(VALU_DEP_1) | instskip(SKIP_1) | instid1(VALU_DEP_1)
	v_cmp_gt_u32_e64 s1, s44, v5
	s_wait_alu 0xf1ff
	v_writelane_b32 v254, s1, 29
	s_and_saveexec_b32 s0, s1
	s_cbranch_execz .LBB7_305
; %bb.304:
	global_load_b64 v[55:56], v[1:2], off offset:303104
.LBB7_305:
	s_wait_alu 0xfffe
	s_or_b32 exec_lo, exec_lo, s0
	v_or_b32_e32 v5, 0x9500, v0
                                        ; implicit-def: $vgpr57_vgpr58
	s_delay_alu instid0(VALU_DEP_1) | instskip(SKIP_1) | instid1(VALU_DEP_1)
	v_cmp_gt_u32_e64 s1, s44, v5
	s_wait_alu 0xf1ff
	v_writelane_b32 v254, s1, 30
	s_and_saveexec_b32 s0, s1
	s_cbranch_execz .LBB7_307
; %bb.306:
	global_load_b64 v[57:58], v[1:2], off offset:305152
.LBB7_307:
	s_wait_alu 0xfffe
	s_or_b32 exec_lo, exec_lo, s0
	v_or_b32_e32 v5, 0x9600, v0
                                        ; implicit-def: $vgpr59_vgpr60
	s_delay_alu instid0(VALU_DEP_1) | instskip(SKIP_1) | instid1(VALU_DEP_1)
	v_cmp_gt_u32_e64 s1, s44, v5
	s_wait_alu 0xf1ff
	v_writelane_b32 v254, s1, 31
	s_and_saveexec_b32 s0, s1
	s_cbranch_execz .LBB7_309
; %bb.308:
	global_load_b64 v[59:60], v[1:2], off offset:307200
.LBB7_309:
	s_wait_alu 0xfffe
	s_or_b32 exec_lo, exec_lo, s0
	v_or_b32_e32 v5, 0x9700, v0
                                        ; implicit-def: $vgpr249 : SGPR spill to VGPR lane
                                        ; implicit-def: $vgpr61_vgpr62
	s_delay_alu instid0(VALU_DEP_1) | instskip(SKIP_1) | instid1(VALU_DEP_1)
	v_cmp_gt_u32_e64 s1, s44, v5
	s_wait_alu 0xf1ff
	v_writelane_b32 v249, s1, 0
	s_and_saveexec_b32 s0, s1
	s_cbranch_execz .LBB7_311
; %bb.310:
	global_load_b64 v[61:62], v[1:2], off offset:309248
.LBB7_311:
	s_wait_alu 0xfffe
	s_or_b32 exec_lo, exec_lo, s0
	v_or_b32_e32 v5, 0x9800, v0
                                        ; implicit-def: $vgpr63_vgpr64
	s_delay_alu instid0(VALU_DEP_1) | instskip(SKIP_1) | instid1(VALU_DEP_1)
	v_cmp_gt_u32_e64 s1, s44, v5
	s_wait_alu 0xf1ff
	v_writelane_b32 v249, s1, 1
	s_and_saveexec_b32 s0, s1
	s_cbranch_execz .LBB7_313
; %bb.312:
	global_load_b64 v[63:64], v[1:2], off offset:311296
.LBB7_313:
	s_wait_alu 0xfffe
	s_or_b32 exec_lo, exec_lo, s0
	v_or_b32_e32 v5, 0x9900, v0
                                        ; implicit-def: $vgpr65_vgpr66
	s_delay_alu instid0(VALU_DEP_1) | instskip(NEXT) | instid1(VALU_DEP_1)
	v_cmp_gt_u32_e64 s47, s44, v5
	s_and_saveexec_b32 s0, s47
	s_cbranch_execz .LBB7_315
; %bb.314:
	global_load_b64 v[65:66], v[1:2], off offset:313344
.LBB7_315:
	s_wait_alu 0xfffe
	s_or_b32 exec_lo, exec_lo, s0
	v_or_b32_e32 v5, 0x9a00, v0
                                        ; implicit-def: $vgpr67_vgpr68
	s_delay_alu instid0(VALU_DEP_1) | instskip(NEXT) | instid1(VALU_DEP_1)
	v_cmp_gt_u32_e64 s48, s44, v5
	s_and_saveexec_b32 s0, s48
	s_cbranch_execz .LBB7_317
; %bb.316:
	global_load_b64 v[67:68], v[1:2], off offset:315392
.LBB7_317:
	s_wait_alu 0xfffe
	s_or_b32 exec_lo, exec_lo, s0
	v_or_b32_e32 v5, 0x9b00, v0
                                        ; implicit-def: $vgpr69_vgpr70
	s_delay_alu instid0(VALU_DEP_1) | instskip(NEXT) | instid1(VALU_DEP_1)
	v_cmp_gt_u32_e64 s49, s44, v5
	s_and_saveexec_b32 s0, s49
	s_cbranch_execz .LBB7_319
; %bb.318:
	global_load_b64 v[69:70], v[1:2], off offset:317440
.LBB7_319:
	s_wait_alu 0xfffe
	s_or_b32 exec_lo, exec_lo, s0
	v_or_b32_e32 v5, 0x9c00, v0
                                        ; implicit-def: $vgpr71_vgpr72
	s_delay_alu instid0(VALU_DEP_1) | instskip(NEXT) | instid1(VALU_DEP_1)
	v_cmp_gt_u32_e64 s50, s44, v5
	s_and_saveexec_b32 s0, s50
	s_cbranch_execz .LBB7_321
; %bb.320:
	global_load_b64 v[71:72], v[1:2], off offset:319488
.LBB7_321:
	s_wait_alu 0xfffe
	s_or_b32 exec_lo, exec_lo, s0
	v_or_b32_e32 v5, 0x9d00, v0
                                        ; implicit-def: $vgpr73_vgpr74
	s_delay_alu instid0(VALU_DEP_1) | instskip(NEXT) | instid1(VALU_DEP_1)
	v_cmp_gt_u32_e64 s51, s44, v5
	s_and_saveexec_b32 s0, s51
	s_cbranch_execz .LBB7_323
; %bb.322:
	global_load_b64 v[73:74], v[1:2], off offset:321536
.LBB7_323:
	s_wait_alu 0xfffe
	s_or_b32 exec_lo, exec_lo, s0
	v_or_b32_e32 v5, 0x9e00, v0
                                        ; implicit-def: $vgpr75_vgpr76
	s_delay_alu instid0(VALU_DEP_1) | instskip(NEXT) | instid1(VALU_DEP_1)
	v_cmp_gt_u32_e64 s52, s44, v5
	s_and_saveexec_b32 s0, s52
	s_cbranch_execz .LBB7_325
; %bb.324:
	global_load_b64 v[75:76], v[1:2], off offset:323584
.LBB7_325:
	s_wait_alu 0xfffe
	s_or_b32 exec_lo, exec_lo, s0
	v_or_b32_e32 v5, 0x9f00, v0
                                        ; implicit-def: $vgpr77_vgpr78
	s_delay_alu instid0(VALU_DEP_1) | instskip(NEXT) | instid1(VALU_DEP_1)
	v_cmp_gt_u32_e64 s53, s44, v5
	s_and_saveexec_b32 s0, s53
	s_cbranch_execz .LBB7_327
; %bb.326:
	global_load_b64 v[77:78], v[1:2], off offset:325632
.LBB7_327:
	s_wait_alu 0xfffe
	s_or_b32 exec_lo, exec_lo, s0
	v_or_b32_e32 v5, 0xa000, v0
                                        ; implicit-def: $vgpr79_vgpr80
	s_delay_alu instid0(VALU_DEP_1) | instskip(NEXT) | instid1(VALU_DEP_1)
	v_cmp_gt_u32_e64 s54, s44, v5
	s_and_saveexec_b32 s0, s54
	s_cbranch_execz .LBB7_329
; %bb.328:
	global_load_b64 v[79:80], v[1:2], off offset:327680
.LBB7_329:
	s_wait_alu 0xfffe
	s_or_b32 exec_lo, exec_lo, s0
	v_or_b32_e32 v5, 0xa100, v0
                                        ; implicit-def: $vgpr81_vgpr82
	s_delay_alu instid0(VALU_DEP_1) | instskip(NEXT) | instid1(VALU_DEP_1)
	v_cmp_gt_u32_e64 s55, s44, v5
	s_and_saveexec_b32 s0, s55
	s_cbranch_execz .LBB7_331
; %bb.330:
	global_load_b64 v[81:82], v[1:2], off offset:329728
.LBB7_331:
	s_wait_alu 0xfffe
	s_or_b32 exec_lo, exec_lo, s0
	v_or_b32_e32 v5, 0xa200, v0
                                        ; implicit-def: $vgpr83_vgpr84
	s_delay_alu instid0(VALU_DEP_1) | instskip(NEXT) | instid1(VALU_DEP_1)
	v_cmp_gt_u32_e64 s56, s44, v5
	s_and_saveexec_b32 s0, s56
	s_cbranch_execz .LBB7_333
; %bb.332:
	global_load_b64 v[83:84], v[1:2], off offset:331776
.LBB7_333:
	s_wait_alu 0xfffe
	s_or_b32 exec_lo, exec_lo, s0
	v_or_b32_e32 v5, 0xa300, v0
                                        ; implicit-def: $vgpr85_vgpr86
	s_delay_alu instid0(VALU_DEP_1) | instskip(NEXT) | instid1(VALU_DEP_1)
	v_cmp_gt_u32_e64 s57, s44, v5
	s_and_saveexec_b32 s0, s57
	s_cbranch_execz .LBB7_335
; %bb.334:
	global_load_b64 v[85:86], v[1:2], off offset:333824
.LBB7_335:
	s_wait_alu 0xfffe
	s_or_b32 exec_lo, exec_lo, s0
	v_or_b32_e32 v5, 0xa400, v0
                                        ; implicit-def: $vgpr87_vgpr88
	s_delay_alu instid0(VALU_DEP_1) | instskip(NEXT) | instid1(VALU_DEP_1)
	v_cmp_gt_u32_e64 s58, s44, v5
	s_and_saveexec_b32 s0, s58
	s_cbranch_execz .LBB7_337
; %bb.336:
	global_load_b64 v[87:88], v[1:2], off offset:335872
.LBB7_337:
	s_wait_alu 0xfffe
	s_or_b32 exec_lo, exec_lo, s0
	v_or_b32_e32 v5, 0xa500, v0
                                        ; implicit-def: $vgpr89_vgpr90
	s_delay_alu instid0(VALU_DEP_1) | instskip(NEXT) | instid1(VALU_DEP_1)
	v_cmp_gt_u32_e64 s59, s44, v5
	s_and_saveexec_b32 s0, s59
	s_cbranch_execz .LBB7_339
; %bb.338:
	global_load_b64 v[89:90], v[1:2], off offset:337920
.LBB7_339:
	s_wait_alu 0xfffe
	s_or_b32 exec_lo, exec_lo, s0
	v_or_b32_e32 v5, 0xa600, v0
                                        ; implicit-def: $vgpr91_vgpr92
	s_delay_alu instid0(VALU_DEP_1) | instskip(NEXT) | instid1(VALU_DEP_1)
	v_cmp_gt_u32_e64 s60, s44, v5
	s_and_saveexec_b32 s0, s60
	s_cbranch_execz .LBB7_341
; %bb.340:
	global_load_b64 v[91:92], v[1:2], off offset:339968
.LBB7_341:
	s_wait_alu 0xfffe
	s_or_b32 exec_lo, exec_lo, s0
	v_or_b32_e32 v5, 0xa700, v0
                                        ; implicit-def: $vgpr93_vgpr94
	s_delay_alu instid0(VALU_DEP_1) | instskip(NEXT) | instid1(VALU_DEP_1)
	v_cmp_gt_u32_e64 s61, s44, v5
	s_and_saveexec_b32 s0, s61
	s_cbranch_execz .LBB7_343
; %bb.342:
	global_load_b64 v[93:94], v[1:2], off offset:342016
.LBB7_343:
	s_wait_alu 0xfffe
	s_or_b32 exec_lo, exec_lo, s0
	v_or_b32_e32 v5, 0xa800, v0
                                        ; implicit-def: $vgpr95_vgpr96
	s_delay_alu instid0(VALU_DEP_1) | instskip(NEXT) | instid1(VALU_DEP_1)
	v_cmp_gt_u32_e64 s62, s44, v5
	s_and_saveexec_b32 s0, s62
	s_cbranch_execz .LBB7_345
; %bb.344:
	global_load_b64 v[95:96], v[1:2], off offset:344064
.LBB7_345:
	s_wait_alu 0xfffe
	s_or_b32 exec_lo, exec_lo, s0
	v_or_b32_e32 v5, 0xa900, v0
                                        ; implicit-def: $vgpr97_vgpr98
	s_delay_alu instid0(VALU_DEP_1) | instskip(NEXT) | instid1(VALU_DEP_1)
	v_cmp_gt_u32_e64 s63, s44, v5
	s_and_saveexec_b32 s0, s63
	s_cbranch_execz .LBB7_347
; %bb.346:
	global_load_b64 v[97:98], v[1:2], off offset:346112
.LBB7_347:
	s_wait_alu 0xfffe
	s_or_b32 exec_lo, exec_lo, s0
	v_or_b32_e32 v5, 0xaa00, v0
                                        ; implicit-def: $vgpr99_vgpr100
	s_delay_alu instid0(VALU_DEP_1) | instskip(NEXT) | instid1(VALU_DEP_1)
	v_cmp_gt_u32_e64 s64, s44, v5
	s_and_saveexec_b32 s0, s64
	s_cbranch_execz .LBB7_349
; %bb.348:
	global_load_b64 v[99:100], v[1:2], off offset:348160
.LBB7_349:
	s_wait_alu 0xfffe
	s_or_b32 exec_lo, exec_lo, s0
	v_or_b32_e32 v5, 0xab00, v0
                                        ; implicit-def: $vgpr101_vgpr102
	s_delay_alu instid0(VALU_DEP_1) | instskip(NEXT) | instid1(VALU_DEP_1)
	v_cmp_gt_u32_e64 s65, s44, v5
	s_and_saveexec_b32 s0, s65
	s_cbranch_execz .LBB7_351
; %bb.350:
	global_load_b64 v[101:102], v[1:2], off offset:350208
.LBB7_351:
	s_wait_alu 0xfffe
	s_or_b32 exec_lo, exec_lo, s0
	v_or_b32_e32 v5, 0xac00, v0
                                        ; implicit-def: $vgpr103_vgpr104
	s_delay_alu instid0(VALU_DEP_1) | instskip(NEXT) | instid1(VALU_DEP_1)
	v_cmp_gt_u32_e64 s66, s44, v5
	s_and_saveexec_b32 s0, s66
	s_cbranch_execz .LBB7_353
; %bb.352:
	global_load_b64 v[103:104], v[1:2], off offset:352256
.LBB7_353:
	s_wait_alu 0xfffe
	s_or_b32 exec_lo, exec_lo, s0
	v_or_b32_e32 v5, 0xad00, v0
                                        ; implicit-def: $vgpr105_vgpr106
	s_delay_alu instid0(VALU_DEP_1) | instskip(NEXT) | instid1(VALU_DEP_1)
	v_cmp_gt_u32_e64 s67, s44, v5
	s_and_saveexec_b32 s0, s67
	s_cbranch_execz .LBB7_355
; %bb.354:
	global_load_b64 v[105:106], v[1:2], off offset:354304
.LBB7_355:
	s_wait_alu 0xfffe
	s_or_b32 exec_lo, exec_lo, s0
	v_or_b32_e32 v5, 0xae00, v0
                                        ; implicit-def: $vgpr107_vgpr108
	s_delay_alu instid0(VALU_DEP_1) | instskip(NEXT) | instid1(VALU_DEP_1)
	v_cmp_gt_u32_e64 s68, s44, v5
	s_and_saveexec_b32 s0, s68
	s_cbranch_execz .LBB7_357
; %bb.356:
	global_load_b64 v[107:108], v[1:2], off offset:356352
.LBB7_357:
	s_wait_alu 0xfffe
	s_or_b32 exec_lo, exec_lo, s0
	v_or_b32_e32 v5, 0xaf00, v0
                                        ; implicit-def: $vgpr109_vgpr110
	s_delay_alu instid0(VALU_DEP_1) | instskip(NEXT) | instid1(VALU_DEP_1)
	v_cmp_gt_u32_e64 s69, s44, v5
	s_and_saveexec_b32 s0, s69
	s_cbranch_execz .LBB7_359
; %bb.358:
	global_load_b64 v[109:110], v[1:2], off offset:358400
.LBB7_359:
	s_wait_alu 0xfffe
	s_or_b32 exec_lo, exec_lo, s0
	v_or_b32_e32 v5, 0xb000, v0
                                        ; implicit-def: $vgpr111_vgpr112
	s_delay_alu instid0(VALU_DEP_1) | instskip(NEXT) | instid1(VALU_DEP_1)
	v_cmp_gt_u32_e64 s70, s44, v5
	s_and_saveexec_b32 s0, s70
	s_cbranch_execz .LBB7_361
; %bb.360:
	global_load_b64 v[111:112], v[1:2], off offset:360448
.LBB7_361:
	s_wait_alu 0xfffe
	s_or_b32 exec_lo, exec_lo, s0
	v_or_b32_e32 v5, 0xb100, v0
                                        ; implicit-def: $vgpr113_vgpr114
	s_delay_alu instid0(VALU_DEP_1) | instskip(NEXT) | instid1(VALU_DEP_1)
	v_cmp_gt_u32_e64 s71, s44, v5
	s_and_saveexec_b32 s0, s71
	s_cbranch_execz .LBB7_363
; %bb.362:
	global_load_b64 v[113:114], v[1:2], off offset:362496
.LBB7_363:
	s_wait_alu 0xfffe
	s_or_b32 exec_lo, exec_lo, s0
	v_or_b32_e32 v5, 0xb200, v0
                                        ; implicit-def: $vgpr115_vgpr116
	s_delay_alu instid0(VALU_DEP_1) | instskip(NEXT) | instid1(VALU_DEP_1)
	v_cmp_gt_u32_e64 s72, s44, v5
	s_and_saveexec_b32 s0, s72
	s_cbranch_execz .LBB7_365
; %bb.364:
	global_load_b64 v[115:116], v[1:2], off offset:364544
.LBB7_365:
	s_wait_alu 0xfffe
	s_or_b32 exec_lo, exec_lo, s0
	v_or_b32_e32 v5, 0xb300, v0
                                        ; implicit-def: $vgpr117_vgpr118
	s_delay_alu instid0(VALU_DEP_1) | instskip(NEXT) | instid1(VALU_DEP_1)
	v_cmp_gt_u32_e64 s73, s44, v5
	s_and_saveexec_b32 s0, s73
	s_cbranch_execz .LBB7_367
; %bb.366:
	global_load_b64 v[117:118], v[1:2], off offset:366592
.LBB7_367:
	s_wait_alu 0xfffe
	s_or_b32 exec_lo, exec_lo, s0
	v_or_b32_e32 v5, 0xb400, v0
                                        ; implicit-def: $vgpr119_vgpr120
	s_delay_alu instid0(VALU_DEP_1) | instskip(NEXT) | instid1(VALU_DEP_1)
	v_cmp_gt_u32_e64 s74, s44, v5
	s_and_saveexec_b32 s0, s74
	s_cbranch_execz .LBB7_369
; %bb.368:
	global_load_b64 v[119:120], v[1:2], off offset:368640
.LBB7_369:
	s_wait_alu 0xfffe
	s_or_b32 exec_lo, exec_lo, s0
	v_or_b32_e32 v5, 0xb500, v0
                                        ; implicit-def: $vgpr121_vgpr122
	s_delay_alu instid0(VALU_DEP_1) | instskip(NEXT) | instid1(VALU_DEP_1)
	v_cmp_gt_u32_e64 s75, s44, v5
	s_and_saveexec_b32 s0, s75
	s_cbranch_execz .LBB7_371
; %bb.370:
	global_load_b64 v[121:122], v[1:2], off offset:370688
.LBB7_371:
	s_wait_alu 0xfffe
	s_or_b32 exec_lo, exec_lo, s0
	v_or_b32_e32 v5, 0xb600, v0
                                        ; implicit-def: $vgpr123_vgpr124
	s_delay_alu instid0(VALU_DEP_1) | instskip(NEXT) | instid1(VALU_DEP_1)
	v_cmp_gt_u32_e64 s76, s44, v5
	s_and_saveexec_b32 s0, s76
	s_cbranch_execz .LBB7_373
; %bb.372:
	global_load_b64 v[123:124], v[1:2], off offset:372736
.LBB7_373:
	s_wait_alu 0xfffe
	s_or_b32 exec_lo, exec_lo, s0
	v_or_b32_e32 v5, 0xb700, v0
                                        ; implicit-def: $vgpr125_vgpr126
	s_delay_alu instid0(VALU_DEP_1) | instskip(NEXT) | instid1(VALU_DEP_1)
	v_cmp_gt_u32_e64 s77, s44, v5
	s_and_saveexec_b32 s0, s77
	s_cbranch_execz .LBB7_375
; %bb.374:
	global_load_b64 v[125:126], v[1:2], off offset:374784
.LBB7_375:
	s_wait_alu 0xfffe
	s_or_b32 exec_lo, exec_lo, s0
	v_or_b32_e32 v5, 0xb800, v0
                                        ; implicit-def: $vgpr127_vgpr128
	s_delay_alu instid0(VALU_DEP_1) | instskip(NEXT) | instid1(VALU_DEP_1)
	v_cmp_gt_u32_e64 s78, s44, v5
	s_and_saveexec_b32 s0, s78
	s_cbranch_execz .LBB7_377
; %bb.376:
	global_load_b64 v[127:128], v[1:2], off offset:376832
.LBB7_377:
	s_wait_alu 0xfffe
	s_or_b32 exec_lo, exec_lo, s0
	v_or_b32_e32 v5, 0xb900, v0
                                        ; implicit-def: $vgpr129_vgpr130
	s_delay_alu instid0(VALU_DEP_1) | instskip(NEXT) | instid1(VALU_DEP_1)
	v_cmp_gt_u32_e64 s79, s44, v5
	s_and_saveexec_b32 s0, s79
	s_cbranch_execz .LBB7_379
; %bb.378:
	global_load_b64 v[129:130], v[1:2], off offset:378880
.LBB7_379:
	s_wait_alu 0xfffe
	s_or_b32 exec_lo, exec_lo, s0
	v_or_b32_e32 v5, 0xba00, v0
                                        ; implicit-def: $vgpr131_vgpr132
	s_delay_alu instid0(VALU_DEP_1) | instskip(NEXT) | instid1(VALU_DEP_1)
	v_cmp_gt_u32_e64 s80, s44, v5
	s_and_saveexec_b32 s0, s80
	s_cbranch_execz .LBB7_381
; %bb.380:
	global_load_b64 v[131:132], v[1:2], off offset:380928
.LBB7_381:
	s_wait_alu 0xfffe
	s_or_b32 exec_lo, exec_lo, s0
	v_or_b32_e32 v5, 0xbb00, v0
                                        ; implicit-def: $vgpr133_vgpr134
	s_delay_alu instid0(VALU_DEP_1) | instskip(NEXT) | instid1(VALU_DEP_1)
	v_cmp_gt_u32_e64 s81, s44, v5
	s_and_saveexec_b32 s0, s81
	s_cbranch_execz .LBB7_383
; %bb.382:
	global_load_b64 v[133:134], v[1:2], off offset:382976
.LBB7_383:
	s_wait_alu 0xfffe
	s_or_b32 exec_lo, exec_lo, s0
	v_or_b32_e32 v5, 0xbc00, v0
                                        ; implicit-def: $vgpr135_vgpr136
	s_delay_alu instid0(VALU_DEP_1) | instskip(NEXT) | instid1(VALU_DEP_1)
	v_cmp_gt_u32_e64 s82, s44, v5
	s_and_saveexec_b32 s0, s82
	s_cbranch_execz .LBB7_385
; %bb.384:
	global_load_b64 v[135:136], v[1:2], off offset:385024
.LBB7_385:
	s_wait_alu 0xfffe
	s_or_b32 exec_lo, exec_lo, s0
	v_or_b32_e32 v5, 0xbd00, v0
                                        ; implicit-def: $vgpr137_vgpr138
	s_delay_alu instid0(VALU_DEP_1) | instskip(NEXT) | instid1(VALU_DEP_1)
	v_cmp_gt_u32_e64 s83, s44, v5
	s_and_saveexec_b32 s0, s83
	s_cbranch_execz .LBB7_387
; %bb.386:
	global_load_b64 v[137:138], v[1:2], off offset:387072
.LBB7_387:
	s_wait_alu 0xfffe
	s_or_b32 exec_lo, exec_lo, s0
	v_or_b32_e32 v5, 0xbe00, v0
                                        ; implicit-def: $vgpr139_vgpr140
	s_delay_alu instid0(VALU_DEP_1) | instskip(NEXT) | instid1(VALU_DEP_1)
	v_cmp_gt_u32_e64 s84, s44, v5
	s_and_saveexec_b32 s0, s84
	s_cbranch_execz .LBB7_389
; %bb.388:
	global_load_b64 v[139:140], v[1:2], off offset:389120
.LBB7_389:
	s_wait_alu 0xfffe
	s_or_b32 exec_lo, exec_lo, s0
	v_or_b32_e32 v5, 0xbf00, v0
                                        ; implicit-def: $vgpr141_vgpr142
	s_delay_alu instid0(VALU_DEP_1) | instskip(NEXT) | instid1(VALU_DEP_1)
	v_cmp_gt_u32_e64 s85, s44, v5
	s_and_saveexec_b32 s0, s85
	s_cbranch_execz .LBB7_391
; %bb.390:
	global_load_b64 v[141:142], v[1:2], off offset:391168
.LBB7_391:
	s_wait_alu 0xfffe
	s_or_b32 exec_lo, exec_lo, s0
	v_or_b32_e32 v5, 0xc000, v0
                                        ; implicit-def: $vgpr143_vgpr144
	s_delay_alu instid0(VALU_DEP_1) | instskip(NEXT) | instid1(VALU_DEP_1)
	v_cmp_gt_u32_e64 s86, s44, v5
	s_and_saveexec_b32 s0, s86
	s_cbranch_execz .LBB7_393
; %bb.392:
	global_load_b64 v[143:144], v[1:2], off offset:393216
.LBB7_393:
	s_wait_alu 0xfffe
	s_or_b32 exec_lo, exec_lo, s0
	v_or_b32_e32 v5, 0xc100, v0
                                        ; implicit-def: $vgpr145_vgpr146
	s_delay_alu instid0(VALU_DEP_1) | instskip(NEXT) | instid1(VALU_DEP_1)
	v_cmp_gt_u32_e64 s87, s44, v5
	s_and_saveexec_b32 s0, s87
	s_cbranch_execz .LBB7_395
; %bb.394:
	global_load_b64 v[145:146], v[1:2], off offset:395264
.LBB7_395:
	s_wait_alu 0xfffe
	s_or_b32 exec_lo, exec_lo, s0
	v_or_b32_e32 v5, 0xc200, v0
                                        ; implicit-def: $vgpr147_vgpr148
	s_delay_alu instid0(VALU_DEP_1) | instskip(NEXT) | instid1(VALU_DEP_1)
	v_cmp_gt_u32_e64 s88, s44, v5
	s_and_saveexec_b32 s0, s88
	s_cbranch_execz .LBB7_397
; %bb.396:
	global_load_b64 v[147:148], v[1:2], off offset:397312
.LBB7_397:
	s_wait_alu 0xfffe
	s_or_b32 exec_lo, exec_lo, s0
	v_or_b32_e32 v5, 0xc300, v0
                                        ; implicit-def: $vgpr149_vgpr150
	s_delay_alu instid0(VALU_DEP_1) | instskip(NEXT) | instid1(VALU_DEP_1)
	v_cmp_gt_u32_e64 s89, s44, v5
	s_and_saveexec_b32 s0, s89
	s_cbranch_execz .LBB7_399
; %bb.398:
	global_load_b64 v[149:150], v[1:2], off offset:399360
.LBB7_399:
	s_wait_alu 0xfffe
	s_or_b32 exec_lo, exec_lo, s0
	v_or_b32_e32 v5, 0xc400, v0
                                        ; implicit-def: $vgpr151_vgpr152
	s_delay_alu instid0(VALU_DEP_1) | instskip(NEXT) | instid1(VALU_DEP_1)
	v_cmp_gt_u32_e64 s90, s44, v5
	s_and_saveexec_b32 s0, s90
	s_cbranch_execz .LBB7_401
; %bb.400:
	global_load_b64 v[151:152], v[1:2], off offset:401408
.LBB7_401:
	s_wait_alu 0xfffe
	s_or_b32 exec_lo, exec_lo, s0
	v_or_b32_e32 v5, 0xc500, v0
                                        ; implicit-def: $vgpr153_vgpr154
	s_delay_alu instid0(VALU_DEP_1) | instskip(NEXT) | instid1(VALU_DEP_1)
	v_cmp_gt_u32_e64 s91, s44, v5
	s_and_saveexec_b32 s0, s91
	s_cbranch_execz .LBB7_403
; %bb.402:
	global_load_b64 v[153:154], v[1:2], off offset:403456
.LBB7_403:
	s_wait_alu 0xfffe
	s_or_b32 exec_lo, exec_lo, s0
	v_or_b32_e32 v5, 0xc600, v0
                                        ; implicit-def: $vgpr155_vgpr156
	s_delay_alu instid0(VALU_DEP_1) | instskip(NEXT) | instid1(VALU_DEP_1)
	v_cmp_gt_u32_e64 s92, s44, v5
	s_and_saveexec_b32 s0, s92
	s_cbranch_execz .LBB7_405
; %bb.404:
	global_load_b64 v[155:156], v[1:2], off offset:405504
.LBB7_405:
	s_wait_alu 0xfffe
	s_or_b32 exec_lo, exec_lo, s0
	v_or_b32_e32 v5, 0xc700, v0
                                        ; implicit-def: $vgpr157_vgpr158
	s_delay_alu instid0(VALU_DEP_1) | instskip(NEXT) | instid1(VALU_DEP_1)
	v_cmp_gt_u32_e64 s93, s44, v5
	s_and_saveexec_b32 s0, s93
	s_cbranch_execz .LBB7_407
; %bb.406:
	global_load_b64 v[157:158], v[1:2], off offset:407552
.LBB7_407:
	s_wait_alu 0xfffe
	s_or_b32 exec_lo, exec_lo, s0
	v_or_b32_e32 v5, 0xc800, v0
                                        ; implicit-def: $vgpr159_vgpr160
	s_delay_alu instid0(VALU_DEP_1) | instskip(NEXT) | instid1(VALU_DEP_1)
	v_cmp_gt_u32_e64 s94, s44, v5
	s_and_saveexec_b32 s0, s94
	s_cbranch_execz .LBB7_409
; %bb.408:
	global_load_b64 v[159:160], v[1:2], off offset:409600
.LBB7_409:
	s_wait_alu 0xfffe
	s_or_b32 exec_lo, exec_lo, s0
	v_or_b32_e32 v5, 0xc900, v0
                                        ; implicit-def: $vgpr161_vgpr162
	s_delay_alu instid0(VALU_DEP_1) | instskip(NEXT) | instid1(VALU_DEP_1)
	v_cmp_gt_u32_e64 s95, s44, v5
	s_and_saveexec_b32 s0, s95
	s_cbranch_execz .LBB7_411
; %bb.410:
	global_load_b64 v[161:162], v[1:2], off offset:411648
.LBB7_411:
	s_wait_alu 0xfffe
	s_or_b32 exec_lo, exec_lo, s0
	v_or_b32_e32 v5, 0xca00, v0
                                        ; implicit-def: $vgpr163_vgpr164
	s_delay_alu instid0(VALU_DEP_1) | instskip(NEXT) | instid1(VALU_DEP_1)
	v_cmp_gt_u32_e64 s96, s44, v5
	s_and_saveexec_b32 s0, s96
	s_cbranch_execz .LBB7_413
; %bb.412:
	global_load_b64 v[163:164], v[1:2], off offset:413696
.LBB7_413:
	s_wait_alu 0xfffe
	s_or_b32 exec_lo, exec_lo, s0
	v_or_b32_e32 v5, 0xcb00, v0
                                        ; implicit-def: $vgpr165_vgpr166
	s_delay_alu instid0(VALU_DEP_1) | instskip(NEXT) | instid1(VALU_DEP_1)
	v_cmp_gt_u32_e64 s97, s44, v5
	s_and_saveexec_b32 s0, s97
	s_cbranch_execz .LBB7_415
; %bb.414:
	global_load_b64 v[165:166], v[1:2], off offset:415744
.LBB7_415:
	s_wait_alu 0xfffe
	s_or_b32 exec_lo, exec_lo, s0
	v_or_b32_e32 v5, 0xcc00, v0
                                        ; implicit-def: $vgpr167_vgpr168
	s_delay_alu instid0(VALU_DEP_1) | instskip(NEXT) | instid1(VALU_DEP_1)
	v_cmp_gt_u32_e64 s98, s44, v5
	s_and_saveexec_b32 s0, s98
	s_cbranch_execz .LBB7_417
; %bb.416:
	global_load_b64 v[167:168], v[1:2], off offset:417792
.LBB7_417:
	s_wait_alu 0xfffe
	s_or_b32 exec_lo, exec_lo, s0
	v_or_b32_e32 v5, 0xcd00, v0
                                        ; implicit-def: $vgpr169_vgpr170
	s_delay_alu instid0(VALU_DEP_1) | instskip(NEXT) | instid1(VALU_DEP_1)
	v_cmp_gt_u32_e64 s99, s44, v5
	s_and_saveexec_b32 s0, s99
	s_cbranch_execz .LBB7_419
; %bb.418:
	global_load_b64 v[169:170], v[1:2], off offset:419840
.LBB7_419:
	s_wait_alu 0xfffe
	s_or_b32 exec_lo, exec_lo, s0
	v_or_b32_e32 v5, 0xce00, v0
                                        ; implicit-def: $vgpr171_vgpr172
	s_delay_alu instid0(VALU_DEP_1) | instskip(NEXT) | instid1(VALU_DEP_1)
	v_cmp_gt_u32_e64 s100, s44, v5
	s_and_saveexec_b32 s0, s100
	s_cbranch_execz .LBB7_421
; %bb.420:
	global_load_b64 v[171:172], v[1:2], off offset:421888
.LBB7_421:
	s_wait_alu 0xfffe
	s_or_b32 exec_lo, exec_lo, s0
	v_or_b32_e32 v5, 0xcf00, v0
                                        ; implicit-def: $vgpr173_vgpr174
	s_delay_alu instid0(VALU_DEP_1) | instskip(NEXT) | instid1(VALU_DEP_1)
	v_cmp_gt_u32_e64 s101, s44, v5
	s_and_saveexec_b32 s0, s101
	s_cbranch_execz .LBB7_423
; %bb.422:
	global_load_b64 v[173:174], v[1:2], off offset:423936
.LBB7_423:
	s_wait_alu 0xfffe
	s_or_b32 exec_lo, exec_lo, s0
	v_or_b32_e32 v5, 0xd000, v0
                                        ; implicit-def: $vgpr175_vgpr176
	s_delay_alu instid0(VALU_DEP_1) | instskip(NEXT) | instid1(VALU_DEP_1)
	v_cmp_gt_u32_e64 s102, s44, v5
	s_and_saveexec_b32 s0, s102
	s_cbranch_execz .LBB7_425
; %bb.424:
	global_load_b64 v[175:176], v[1:2], off offset:425984
.LBB7_425:
	s_wait_alu 0xfffe
	s_or_b32 exec_lo, exec_lo, s0
	v_or_b32_e32 v5, 0xd100, v0
                                        ; implicit-def: $vgpr177_vgpr178
	s_delay_alu instid0(VALU_DEP_1) | instskip(NEXT) | instid1(VALU_DEP_1)
	v_cmp_gt_u32_e64 s103, s44, v5
	s_and_saveexec_b32 s0, s103
	s_cbranch_execz .LBB7_427
; %bb.426:
	global_load_b64 v[177:178], v[1:2], off offset:428032
.LBB7_427:
	s_wait_alu 0xfffe
	s_or_b32 exec_lo, exec_lo, s0
	v_or_b32_e32 v5, 0xd200, v0
                                        ; implicit-def: $vgpr179_vgpr180
	s_delay_alu instid0(VALU_DEP_1) | instskip(NEXT) | instid1(VALU_DEP_1)
	v_cmp_gt_u32_e64 s104, s44, v5
	s_and_saveexec_b32 s0, s104
	s_cbranch_execz .LBB7_429
; %bb.428:
	global_load_b64 v[179:180], v[1:2], off offset:430080
.LBB7_429:
	s_wait_alu 0xfffe
	s_or_b32 exec_lo, exec_lo, s0
	v_or_b32_e32 v5, 0xd300, v0
                                        ; implicit-def: $vgpr181_vgpr182
	s_delay_alu instid0(VALU_DEP_1) | instskip(NEXT) | instid1(VALU_DEP_1)
	v_cmp_gt_u32_e64 vcc_hi, s44, v5
	s_and_saveexec_b32 s0, vcc_hi
	s_cbranch_execz .LBB7_431
; %bb.430:
	global_load_b64 v[181:182], v[1:2], off offset:432128
.LBB7_431:
	s_wait_alu 0xfffe
	s_or_b32 exec_lo, exec_lo, s0
	v_or_b32_e32 v5, 0xd400, v0
                                        ; implicit-def: $vgpr183_vgpr184
	s_delay_alu instid0(VALU_DEP_1) | instskip(NEXT) | instid1(VALU_DEP_1)
	v_cmp_gt_u32_e64 s0, s44, v5
	s_and_saveexec_b32 s1, s0
	s_cbranch_execz .LBB7_433
; %bb.432:
	global_load_b64 v[183:184], v[1:2], off offset:434176
.LBB7_433:
	s_wait_alu 0xfffe
	s_or_b32 exec_lo, exec_lo, s1
	v_or_b32_e32 v5, 0xd500, v0
                                        ; implicit-def: $vgpr185_vgpr186
	s_delay_alu instid0(VALU_DEP_1) | instskip(NEXT) | instid1(VALU_DEP_1)
	v_cmp_gt_u32_e64 s1, s44, v5
	s_and_saveexec_b32 s2, s1
	s_cbranch_execz .LBB7_435
; %bb.434:
	global_load_b64 v[185:186], v[1:2], off offset:436224
.LBB7_435:
	s_wait_alu 0xfffe
	s_or_b32 exec_lo, exec_lo, s2
	v_or_b32_e32 v5, 0xd600, v0
                                        ; implicit-def: $vgpr187_vgpr188
	s_delay_alu instid0(VALU_DEP_1) | instskip(NEXT) | instid1(VALU_DEP_1)
	v_cmp_gt_u32_e64 s2, s44, v5
	s_and_saveexec_b32 s3, s2
	s_cbranch_execz .LBB7_437
; %bb.436:
	global_load_b64 v[187:188], v[1:2], off offset:438272
.LBB7_437:
	s_wait_alu 0xfffe
	s_or_b32 exec_lo, exec_lo, s3
	v_or_b32_e32 v5, 0xd700, v0
                                        ; implicit-def: $vgpr189_vgpr190
	s_delay_alu instid0(VALU_DEP_1) | instskip(NEXT) | instid1(VALU_DEP_1)
	v_cmp_gt_u32_e64 s3, s44, v5
	s_and_saveexec_b32 s4, s3
	s_cbranch_execz .LBB7_439
; %bb.438:
	global_load_b64 v[189:190], v[1:2], off offset:440320
.LBB7_439:
	s_wait_alu 0xfffe
	s_or_b32 exec_lo, exec_lo, s4
	v_or_b32_e32 v5, 0xd800, v0
                                        ; implicit-def: $vgpr191_vgpr192
	s_delay_alu instid0(VALU_DEP_1) | instskip(NEXT) | instid1(VALU_DEP_1)
	v_cmp_gt_u32_e64 s4, s44, v5
	s_and_saveexec_b32 s5, s4
	s_cbranch_execz .LBB7_441
; %bb.440:
	global_load_b64 v[191:192], v[1:2], off offset:442368
.LBB7_441:
	s_wait_alu 0xfffe
	s_or_b32 exec_lo, exec_lo, s5
	v_or_b32_e32 v5, 0xd900, v0
                                        ; implicit-def: $vgpr193_vgpr194
	s_delay_alu instid0(VALU_DEP_1) | instskip(NEXT) | instid1(VALU_DEP_1)
	v_cmp_gt_u32_e64 s5, s44, v5
	s_and_saveexec_b32 s6, s5
	s_cbranch_execz .LBB7_443
; %bb.442:
	global_load_b64 v[193:194], v[1:2], off offset:444416
.LBB7_443:
	s_wait_alu 0xfffe
	s_or_b32 exec_lo, exec_lo, s6
	v_or_b32_e32 v5, 0xda00, v0
                                        ; implicit-def: $vgpr195_vgpr196
	s_delay_alu instid0(VALU_DEP_1) | instskip(NEXT) | instid1(VALU_DEP_1)
	v_cmp_gt_u32_e64 s6, s44, v5
	s_and_saveexec_b32 s7, s6
	s_cbranch_execz .LBB7_445
; %bb.444:
	global_load_b64 v[195:196], v[1:2], off offset:446464
.LBB7_445:
	s_wait_alu 0xfffe
	s_or_b32 exec_lo, exec_lo, s7
	v_or_b32_e32 v5, 0xdb00, v0
                                        ; implicit-def: $vgpr197_vgpr198
	s_delay_alu instid0(VALU_DEP_1) | instskip(NEXT) | instid1(VALU_DEP_1)
	v_cmp_gt_u32_e64 s7, s44, v5
	s_and_saveexec_b32 s8, s7
	s_cbranch_execz .LBB7_447
; %bb.446:
	global_load_b64 v[197:198], v[1:2], off offset:448512
.LBB7_447:
	s_wait_alu 0xfffe
	s_or_b32 exec_lo, exec_lo, s8
	v_or_b32_e32 v5, 0xdc00, v0
                                        ; implicit-def: $vgpr199_vgpr200
	s_delay_alu instid0(VALU_DEP_1) | instskip(NEXT) | instid1(VALU_DEP_1)
	v_cmp_gt_u32_e64 s8, s44, v5
	s_and_saveexec_b32 s9, s8
	s_cbranch_execz .LBB7_449
; %bb.448:
	global_load_b64 v[199:200], v[1:2], off offset:450560
.LBB7_449:
	s_wait_alu 0xfffe
	s_or_b32 exec_lo, exec_lo, s9
	v_or_b32_e32 v5, 0xdd00, v0
                                        ; implicit-def: $vgpr201_vgpr202
	s_delay_alu instid0(VALU_DEP_1) | instskip(NEXT) | instid1(VALU_DEP_1)
	v_cmp_gt_u32_e64 s9, s44, v5
	s_and_saveexec_b32 s10, s9
	s_cbranch_execz .LBB7_451
; %bb.450:
	global_load_b64 v[201:202], v[1:2], off offset:452608
.LBB7_451:
	s_wait_alu 0xfffe
	s_or_b32 exec_lo, exec_lo, s10
	v_or_b32_e32 v5, 0xde00, v0
                                        ; implicit-def: $vgpr203_vgpr204
	s_delay_alu instid0(VALU_DEP_1) | instskip(NEXT) | instid1(VALU_DEP_1)
	v_cmp_gt_u32_e64 s10, s44, v5
	s_and_saveexec_b32 s11, s10
	s_cbranch_execz .LBB7_453
; %bb.452:
	global_load_b64 v[203:204], v[1:2], off offset:454656
.LBB7_453:
	s_wait_alu 0xfffe
	s_or_b32 exec_lo, exec_lo, s11
	v_or_b32_e32 v5, 0xdf00, v0
                                        ; implicit-def: $vgpr205_vgpr206
	s_delay_alu instid0(VALU_DEP_1) | instskip(NEXT) | instid1(VALU_DEP_1)
	v_cmp_gt_u32_e64 s11, s44, v5
	s_and_saveexec_b32 s12, s11
	s_cbranch_execz .LBB7_455
; %bb.454:
	global_load_b64 v[205:206], v[1:2], off offset:456704
.LBB7_455:
	s_or_b32 exec_lo, exec_lo, s12
	v_or_b32_e32 v5, 0xe000, v0
                                        ; implicit-def: $vgpr207_vgpr208
	s_delay_alu instid0(VALU_DEP_1) | instskip(NEXT) | instid1(VALU_DEP_1)
	v_cmp_gt_u32_e64 s12, s44, v5
	s_and_saveexec_b32 s13, s12
	s_cbranch_execz .LBB7_457
; %bb.456:
	global_load_b64 v[207:208], v[1:2], off offset:458752
.LBB7_457:
	s_or_b32 exec_lo, exec_lo, s13
	v_or_b32_e32 v5, 0xe100, v0
                                        ; implicit-def: $vgpr209_vgpr210
	s_delay_alu instid0(VALU_DEP_1) | instskip(NEXT) | instid1(VALU_DEP_1)
	v_cmp_gt_u32_e64 s13, s44, v5
	s_and_saveexec_b32 s14, s13
	s_cbranch_execz .LBB7_459
; %bb.458:
	global_load_b64 v[209:210], v[1:2], off offset:460800
.LBB7_459:
	s_or_b32 exec_lo, exec_lo, s14
	v_or_b32_e32 v5, 0xe200, v0
                                        ; implicit-def: $vgpr211_vgpr212
	s_delay_alu instid0(VALU_DEP_1) | instskip(NEXT) | instid1(VALU_DEP_1)
	v_cmp_gt_u32_e64 s14, s44, v5
	s_and_saveexec_b32 s15, s14
	s_cbranch_execz .LBB7_461
; %bb.460:
	global_load_b64 v[211:212], v[1:2], off offset:462848
.LBB7_461:
	s_or_b32 exec_lo, exec_lo, s15
	v_or_b32_e32 v5, 0xe300, v0
                                        ; implicit-def: $vgpr213_vgpr214
	s_delay_alu instid0(VALU_DEP_1) | instskip(NEXT) | instid1(VALU_DEP_1)
	v_cmp_gt_u32_e64 s15, s44, v5
	s_and_saveexec_b32 s16, s15
	s_cbranch_execz .LBB7_463
; %bb.462:
	global_load_b64 v[213:214], v[1:2], off offset:464896
.LBB7_463:
	s_or_b32 exec_lo, exec_lo, s16
	v_or_b32_e32 v5, 0xe400, v0
                                        ; implicit-def: $vgpr215_vgpr216
	s_delay_alu instid0(VALU_DEP_1) | instskip(NEXT) | instid1(VALU_DEP_1)
	v_cmp_gt_u32_e64 s16, s44, v5
	s_and_saveexec_b32 s17, s16
	s_cbranch_execz .LBB7_465
; %bb.464:
	global_load_b64 v[215:216], v[1:2], off offset:466944
.LBB7_465:
	s_or_b32 exec_lo, exec_lo, s17
	v_or_b32_e32 v5, 0xe500, v0
                                        ; implicit-def: $vgpr217_vgpr218
	s_delay_alu instid0(VALU_DEP_1) | instskip(NEXT) | instid1(VALU_DEP_1)
	v_cmp_gt_u32_e64 s17, s44, v5
	s_and_saveexec_b32 s18, s17
	s_cbranch_execz .LBB7_467
; %bb.466:
	global_load_b64 v[217:218], v[1:2], off offset:468992
.LBB7_467:
	s_or_b32 exec_lo, exec_lo, s18
	v_or_b32_e32 v5, 0xe600, v0
                                        ; implicit-def: $vgpr219_vgpr220
	s_delay_alu instid0(VALU_DEP_1) | instskip(NEXT) | instid1(VALU_DEP_1)
	v_cmp_gt_u32_e64 s18, s44, v5
	s_and_saveexec_b32 s19, s18
	s_cbranch_execz .LBB7_469
; %bb.468:
	global_load_b64 v[219:220], v[1:2], off offset:471040
.LBB7_469:
	s_or_b32 exec_lo, exec_lo, s19
	v_or_b32_e32 v5, 0xe700, v0
                                        ; implicit-def: $vgpr221_vgpr222
	s_delay_alu instid0(VALU_DEP_1) | instskip(NEXT) | instid1(VALU_DEP_1)
	v_cmp_gt_u32_e64 s19, s44, v5
	s_and_saveexec_b32 s20, s19
	s_cbranch_execz .LBB7_471
; %bb.470:
	global_load_b64 v[221:222], v[1:2], off offset:473088
.LBB7_471:
	s_wait_alu 0xfffe
	s_or_b32 exec_lo, exec_lo, s20
	v_or_b32_e32 v5, 0xe800, v0
                                        ; implicit-def: $vgpr223_vgpr224
	s_delay_alu instid0(VALU_DEP_1) | instskip(NEXT) | instid1(VALU_DEP_1)
	v_cmp_gt_u32_e64 s20, s44, v5
	s_and_saveexec_b32 s21, s20
	s_cbranch_execz .LBB7_473
; %bb.472:
	global_load_b64 v[223:224], v[1:2], off offset:475136
.LBB7_473:
	s_wait_alu 0xfffe
	s_or_b32 exec_lo, exec_lo, s21
	v_or_b32_e32 v5, 0xe900, v0
                                        ; implicit-def: $vgpr225_vgpr226
	s_delay_alu instid0(VALU_DEP_1) | instskip(NEXT) | instid1(VALU_DEP_1)
	v_cmp_gt_u32_e64 s21, s44, v5
	s_and_saveexec_b32 s22, s21
	s_cbranch_execz .LBB7_475
; %bb.474:
	global_load_b64 v[225:226], v[1:2], off offset:477184
.LBB7_475:
	s_or_b32 exec_lo, exec_lo, s22
	v_or_b32_e32 v5, 0xea00, v0
                                        ; implicit-def: $vgpr227_vgpr228
	s_delay_alu instid0(VALU_DEP_1) | instskip(NEXT) | instid1(VALU_DEP_1)
	v_cmp_gt_u32_e64 s22, s44, v5
	s_and_saveexec_b32 s23, s22
	s_cbranch_execz .LBB7_477
; %bb.476:
	global_load_b64 v[227:228], v[1:2], off offset:479232
.LBB7_477:
	s_or_b32 exec_lo, exec_lo, s23
	v_or_b32_e32 v5, 0xeb00, v0
                                        ; implicit-def: $vgpr229_vgpr230
	s_delay_alu instid0(VALU_DEP_1) | instskip(NEXT) | instid1(VALU_DEP_1)
	v_cmp_gt_u32_e64 s23, s44, v5
	s_and_saveexec_b32 s24, s23
	s_cbranch_execz .LBB7_479
; %bb.478:
	global_load_b64 v[229:230], v[1:2], off offset:481280
.LBB7_479:
	s_or_b32 exec_lo, exec_lo, s24
	v_or_b32_e32 v5, 0xec00, v0
                                        ; implicit-def: $vgpr231_vgpr232
	s_delay_alu instid0(VALU_DEP_1) | instskip(NEXT) | instid1(VALU_DEP_1)
	v_cmp_gt_u32_e64 s24, s44, v5
	s_and_saveexec_b32 s25, s24
	s_cbranch_execz .LBB7_481
; %bb.480:
	global_load_b64 v[231:232], v[1:2], off offset:483328
.LBB7_481:
	s_or_b32 exec_lo, exec_lo, s25
	v_or_b32_e32 v5, 0xed00, v0
                                        ; implicit-def: $vgpr233_vgpr234
	s_delay_alu instid0(VALU_DEP_1) | instskip(NEXT) | instid1(VALU_DEP_1)
	v_cmp_gt_u32_e64 s25, s44, v5
	s_and_saveexec_b32 s26, s25
	s_cbranch_execz .LBB7_483
; %bb.482:
	global_load_b64 v[233:234], v[1:2], off offset:485376
.LBB7_483:
	s_or_b32 exec_lo, exec_lo, s26
	v_or_b32_e32 v5, 0xee00, v0
                                        ; implicit-def: $vgpr235_vgpr236
	s_delay_alu instid0(VALU_DEP_1) | instskip(NEXT) | instid1(VALU_DEP_1)
	v_cmp_gt_u32_e64 s26, s44, v5
	s_and_saveexec_b32 s27, s26
	s_cbranch_execz .LBB7_485
; %bb.484:
	global_load_b64 v[235:236], v[1:2], off offset:487424
.LBB7_485:
	s_or_b32 exec_lo, exec_lo, s27
	v_or_b32_e32 v5, 0xef00, v0
                                        ; implicit-def: $vgpr237_vgpr238
	s_delay_alu instid0(VALU_DEP_1) | instskip(NEXT) | instid1(VALU_DEP_1)
	v_cmp_gt_u32_e64 s27, s44, v5
	s_and_saveexec_b32 s28, s27
	s_cbranch_execz .LBB7_487
; %bb.486:
	global_load_b64 v[237:238], v[1:2], off offset:489472
.LBB7_487:
	s_or_b32 exec_lo, exec_lo, s28
	v_or_b32_e32 v5, 0xf000, v0
                                        ; implicit-def: $vgpr239_vgpr240
	s_delay_alu instid0(VALU_DEP_1) | instskip(NEXT) | instid1(VALU_DEP_1)
	v_cmp_gt_u32_e64 s28, s44, v5
	s_and_saveexec_b32 s29, s28
	s_cbranch_execz .LBB7_489
; %bb.488:
	global_load_b64 v[239:240], v[1:2], off offset:491520
.LBB7_489:
	s_or_b32 exec_lo, exec_lo, s29
	v_or_b32_e32 v5, 0xf100, v0
                                        ; implicit-def: $vgpr241_vgpr242
	s_delay_alu instid0(VALU_DEP_1) | instskip(NEXT) | instid1(VALU_DEP_1)
	v_cmp_gt_u32_e64 s29, s44, v5
	s_and_saveexec_b32 s30, s29
	s_cbranch_execz .LBB7_491
; %bb.490:
	global_load_b64 v[241:242], v[1:2], off offset:493568
.LBB7_491:
	s_or_b32 exec_lo, exec_lo, s30
	v_or_b32_e32 v5, 0xf200, v0
                                        ; implicit-def: $vgpr243_vgpr244
	s_delay_alu instid0(VALU_DEP_1) | instskip(NEXT) | instid1(VALU_DEP_1)
	v_cmp_gt_u32_e64 s30, s44, v5
	s_and_saveexec_b32 s31, s30
	s_cbranch_execz .LBB7_493
; %bb.492:
	global_load_b64 v[243:244], v[1:2], off offset:495616
.LBB7_493:
	s_or_b32 exec_lo, exec_lo, s31
	v_or_b32_e32 v5, 0xf300, v0
                                        ; implicit-def: $vgpr245_vgpr246
	s_delay_alu instid0(VALU_DEP_1) | instskip(NEXT) | instid1(VALU_DEP_1)
	v_cmp_gt_u32_e64 s31, s44, v5
	s_and_saveexec_b32 s33, s31
	s_cbranch_execz .LBB7_495
; %bb.494:
	global_load_b64 v[245:246], v[1:2], off offset:497664
.LBB7_495:
	s_or_b32 exec_lo, exec_lo, s33
	v_or_b32_e32 v5, 0xf400, v0
                                        ; implicit-def: $vgpr247_vgpr248
	s_delay_alu instid0(VALU_DEP_1) | instskip(NEXT) | instid1(VALU_DEP_1)
	v_cmp_gt_u32_e64 s33, s44, v5
	s_and_saveexec_b32 s34, s33
	s_cbranch_execz .LBB7_497
; %bb.496:
	global_load_b64 v[247:248], v[1:2], off offset:499712
.LBB7_497:
	s_or_b32 exec_lo, exec_lo, s34
	v_or_b32_e32 v5, 0xf500, v0
	s_delay_alu instid0(VALU_DEP_1) | instskip(NEXT) | instid1(VALU_DEP_1)
	v_cmp_gt_u32_e64 s34, s44, v5
                                        ; implicit-def: $vgpr5_vgpr6
	s_and_saveexec_b32 s35, s34
	s_cbranch_execz .LBB7_499
; %bb.498:
	global_load_b64 v[5:6], v[1:2], off offset:501760
.LBB7_499:
	s_or_b32 exec_lo, exec_lo, s35
	v_or_b32_e32 v7, 0xf600, v0
	s_delay_alu instid0(VALU_DEP_1) | instskip(NEXT) | instid1(VALU_DEP_1)
	v_cmp_gt_u32_e64 s35, s44, v7
                                        ; implicit-def: $vgpr7_vgpr8
	s_and_saveexec_b32 s36, s35
	s_cbranch_execz .LBB7_501
; %bb.500:
	global_load_b64 v[7:8], v[1:2], off offset:503808
.LBB7_501:
	s_or_b32 exec_lo, exec_lo, s36
	v_or_b32_e32 v9, 0xf700, v0
	s_delay_alu instid0(VALU_DEP_1) | instskip(NEXT) | instid1(VALU_DEP_1)
	v_cmp_gt_u32_e64 s36, s44, v9
                                        ; implicit-def: $vgpr9_vgpr10
	s_and_saveexec_b32 s37, s36
	s_cbranch_execz .LBB7_503
; %bb.502:
	global_load_b64 v[9:10], v[1:2], off offset:505856
.LBB7_503:
	s_or_b32 exec_lo, exec_lo, s37
	v_or_b32_e32 v11, 0xf800, v0
	s_delay_alu instid0(VALU_DEP_1) | instskip(NEXT) | instid1(VALU_DEP_1)
	v_cmp_gt_u32_e64 s37, s44, v11
                                        ; implicit-def: $vgpr11_vgpr12
	s_and_saveexec_b32 s38, s37
	s_cbranch_execz .LBB7_505
; %bb.504:
	global_load_b64 v[11:12], v[1:2], off offset:507904
.LBB7_505:
	s_or_b32 exec_lo, exec_lo, s38
	v_or_b32_e32 v13, 0xf900, v0
	s_delay_alu instid0(VALU_DEP_1) | instskip(NEXT) | instid1(VALU_DEP_1)
	v_cmp_gt_u32_e64 s38, s44, v13
                                        ; implicit-def: $vgpr13_vgpr14
	s_and_saveexec_b32 s39, s38
	s_cbranch_execz .LBB7_507
; %bb.506:
	global_load_b64 v[13:14], v[1:2], off offset:509952
.LBB7_507:
	s_or_b32 exec_lo, exec_lo, s39
	v_or_b32_e32 v15, 0xfa00, v0
	s_delay_alu instid0(VALU_DEP_1) | instskip(NEXT) | instid1(VALU_DEP_1)
	v_cmp_gt_u32_e64 s39, s44, v15
                                        ; implicit-def: $vgpr15_vgpr16
	s_and_saveexec_b32 s40, s39
	s_cbranch_execz .LBB7_509
; %bb.508:
	global_load_b64 v[15:16], v[1:2], off offset:512000
.LBB7_509:
	s_or_b32 exec_lo, exec_lo, s40
	v_or_b32_e32 v17, 0xfb00, v0
	s_delay_alu instid0(VALU_DEP_1) | instskip(NEXT) | instid1(VALU_DEP_1)
	v_cmp_gt_u32_e64 s40, s44, v17
                                        ; implicit-def: $vgpr17_vgpr18
	s_and_saveexec_b32 s41, s40
	s_cbranch_execz .LBB7_511
; %bb.510:
	global_load_b64 v[17:18], v[1:2], off offset:514048
.LBB7_511:
	s_or_b32 exec_lo, exec_lo, s41
	v_or_b32_e32 v19, 0xfc00, v0
	s_delay_alu instid0(VALU_DEP_1) | instskip(NEXT) | instid1(VALU_DEP_1)
	v_cmp_gt_u32_e64 s41, s44, v19
                                        ; implicit-def: $vgpr19_vgpr20
	s_and_saveexec_b32 s42, s41
	s_cbranch_execz .LBB7_513
; %bb.512:
	global_load_b64 v[19:20], v[1:2], off offset:516096
.LBB7_513:
	s_or_b32 exec_lo, exec_lo, s42
	v_or_b32_e32 v21, 0xfd00, v0
	s_delay_alu instid0(VALU_DEP_1) | instskip(NEXT) | instid1(VALU_DEP_1)
	v_cmp_gt_u32_e64 s42, s44, v21
                                        ; implicit-def: $vgpr21_vgpr22
	s_and_saveexec_b32 s43, s42
	s_cbranch_execz .LBB7_515
; %bb.514:
	global_load_b64 v[21:22], v[1:2], off offset:518144
.LBB7_515:
	s_or_b32 exec_lo, exec_lo, s43
	v_or_b32_e32 v23, 0xfe00, v0
	s_delay_alu instid0(VALU_DEP_1)
	v_cmp_gt_u32_e32 vcc_lo, s44, v23
                                        ; implicit-def: $vgpr23_vgpr24
	s_and_saveexec_b32 s43, vcc_lo
	s_cbranch_execz .LBB7_517
; %bb.516:
	global_load_b64 v[23:24], v[1:2], off offset:520192
.LBB7_517:
	s_or_b32 exec_lo, exec_lo, s43
	v_or_b32_e32 v25, 0xff00, v0
	s_delay_alu instid0(VALU_DEP_1) | instskip(NEXT) | instid1(VALU_DEP_1)
	v_cmp_gt_u32_e64 s43, s44, v25
                                        ; implicit-def: $vgpr25_vgpr26
	s_and_saveexec_b32 s45, s43
	s_cbranch_execz .LBB7_519
; %bb.518:
	global_load_b64 v[25:26], v[1:2], off offset:522240
.LBB7_519:
	s_wait_alu 0xfffe
	s_or_b32 exec_lo, exec_lo, s45
	scratch_load_b64 v[1:2], off, off th:TH_LOAD_LU ; 8-byte Folded Reload
	v_readlane_b32 s45, v250, 10
	s_wait_loadcnt 0x0
	v_add_f64_e32 v[1:2], v[3:4], v[1:2]
	s_wait_alu 0xf1ff
	s_delay_alu instid0(VALU_DEP_1) | instskip(NEXT) | instid1(VALU_DEP_2)
	v_cndmask_b32_e64 v2, v4, v2, s45
	v_cndmask_b32_e64 v1, v3, v1, s45
	scratch_load_b64 v[3:4], off, off offset:8 th:TH_LOAD_LU ; 8-byte Folded Reload
	v_readlane_b32 s45, v250, 11
	s_wait_loadcnt 0x0
	v_add_f64_e32 v[3:4], v[1:2], v[3:4]
	s_wait_alu 0xf1ff
	s_delay_alu instid0(VALU_DEP_1) | instskip(NEXT) | instid1(VALU_DEP_2)
	v_cndmask_b32_e64 v2, v2, v4, s45
	v_cndmask_b32_e64 v1, v1, v3, s45
	scratch_load_b64 v[3:4], off, off offset:16 th:TH_LOAD_LU ; 8-byte Folded Reload
	v_readlane_b32 s45, v250, 12
	s_wait_loadcnt 0x0
	v_add_f64_e32 v[3:4], v[1:2], v[3:4]
	s_wait_alu 0xf1ff
	s_delay_alu instid0(VALU_DEP_1) | instskip(NEXT) | instid1(VALU_DEP_2)
	v_cndmask_b32_e64 v2, v2, v4, s45
	v_cndmask_b32_e64 v1, v1, v3, s45
	scratch_load_b64 v[3:4], off, off offset:24 th:TH_LOAD_LU ; 8-byte Folded Reload
	v_readlane_b32 s45, v250, 13
	s_wait_loadcnt 0x0
	v_add_f64_e32 v[3:4], v[1:2], v[3:4]
	s_wait_alu 0xf1ff
	s_delay_alu instid0(VALU_DEP_1) | instskip(NEXT) | instid1(VALU_DEP_2)
	v_cndmask_b32_e64 v2, v2, v4, s45
	v_cndmask_b32_e64 v1, v1, v3, s45
	scratch_load_b64 v[3:4], off, off offset:32 th:TH_LOAD_LU ; 8-byte Folded Reload
	v_readlane_b32 s45, v250, 14
	s_wait_loadcnt 0x0
	v_add_f64_e32 v[3:4], v[1:2], v[3:4]
	s_wait_alu 0xf1ff
	s_delay_alu instid0(VALU_DEP_1) | instskip(NEXT) | instid1(VALU_DEP_2)
	v_cndmask_b32_e64 v2, v2, v4, s45
	v_cndmask_b32_e64 v1, v1, v3, s45
	scratch_load_b64 v[3:4], off, off offset:40 th:TH_LOAD_LU ; 8-byte Folded Reload
	v_readlane_b32 s45, v250, 15
	s_wait_loadcnt 0x0
	v_add_f64_e32 v[3:4], v[1:2], v[3:4]
	s_wait_alu 0xf1ff
	s_delay_alu instid0(VALU_DEP_1) | instskip(NEXT) | instid1(VALU_DEP_2)
	v_cndmask_b32_e64 v2, v2, v4, s45
	v_cndmask_b32_e64 v1, v1, v3, s45
	scratch_load_b64 v[3:4], off, off offset:48 th:TH_LOAD_LU ; 8-byte Folded Reload
	v_readlane_b32 s45, v250, 16
	s_wait_loadcnt 0x0
	v_add_f64_e32 v[3:4], v[1:2], v[3:4]
	s_wait_alu 0xf1ff
	s_delay_alu instid0(VALU_DEP_1) | instskip(NEXT) | instid1(VALU_DEP_2)
	v_cndmask_b32_e64 v2, v2, v4, s45
	v_cndmask_b32_e64 v1, v1, v3, s45
	scratch_load_b64 v[3:4], off, off offset:56 th:TH_LOAD_LU ; 8-byte Folded Reload
	v_readlane_b32 s45, v250, 17
	s_wait_loadcnt 0x0
	v_add_f64_e32 v[3:4], v[1:2], v[3:4]
	s_wait_alu 0xf1ff
	s_delay_alu instid0(VALU_DEP_1) | instskip(NEXT) | instid1(VALU_DEP_2)
	v_cndmask_b32_e64 v2, v2, v4, s45
	v_cndmask_b32_e64 v1, v1, v3, s45
	scratch_load_b64 v[3:4], off, off offset:64 th:TH_LOAD_LU ; 8-byte Folded Reload
	v_readlane_b32 s45, v250, 18
	s_wait_loadcnt 0x0
	v_add_f64_e32 v[3:4], v[1:2], v[3:4]
	s_wait_alu 0xf1ff
	s_delay_alu instid0(VALU_DEP_1) | instskip(NEXT) | instid1(VALU_DEP_2)
	v_cndmask_b32_e64 v2, v2, v4, s45
	v_cndmask_b32_e64 v1, v1, v3, s45
	scratch_load_b64 v[3:4], off, off offset:72 th:TH_LOAD_LU ; 8-byte Folded Reload
	v_readlane_b32 s45, v250, 19
	s_wait_loadcnt 0x0
	v_add_f64_e32 v[3:4], v[1:2], v[3:4]
	s_wait_alu 0xf1ff
	s_delay_alu instid0(VALU_DEP_1) | instskip(NEXT) | instid1(VALU_DEP_2)
	v_cndmask_b32_e64 v2, v2, v4, s45
	v_cndmask_b32_e64 v1, v1, v3, s45
	scratch_load_b64 v[3:4], off, off offset:80 th:TH_LOAD_LU ; 8-byte Folded Reload
	v_readlane_b32 s45, v250, 20
	s_wait_loadcnt 0x0
	v_add_f64_e32 v[3:4], v[1:2], v[3:4]
	s_wait_alu 0xf1ff
	s_delay_alu instid0(VALU_DEP_1) | instskip(NEXT) | instid1(VALU_DEP_2)
	v_cndmask_b32_e64 v2, v2, v4, s45
	v_cndmask_b32_e64 v1, v1, v3, s45
	scratch_load_b64 v[3:4], off, off offset:88 th:TH_LOAD_LU ; 8-byte Folded Reload
	v_readlane_b32 s45, v250, 21
	s_wait_loadcnt 0x0
	v_add_f64_e32 v[3:4], v[1:2], v[3:4]
	s_wait_alu 0xf1ff
	s_delay_alu instid0(VALU_DEP_1) | instskip(NEXT) | instid1(VALU_DEP_2)
	v_cndmask_b32_e64 v2, v2, v4, s45
	v_cndmask_b32_e64 v1, v1, v3, s45
	scratch_load_b64 v[3:4], off, off offset:96 th:TH_LOAD_LU ; 8-byte Folded Reload
	v_readlane_b32 s45, v250, 22
	s_wait_loadcnt 0x0
	v_add_f64_e32 v[3:4], v[1:2], v[3:4]
	s_wait_alu 0xf1ff
	s_delay_alu instid0(VALU_DEP_1) | instskip(NEXT) | instid1(VALU_DEP_2)
	v_cndmask_b32_e64 v2, v2, v4, s45
	v_cndmask_b32_e64 v1, v1, v3, s45
	scratch_load_b64 v[3:4], off, off offset:104 th:TH_LOAD_LU ; 8-byte Folded Reload
	v_readlane_b32 s45, v250, 23
	s_wait_loadcnt 0x0
	v_add_f64_e32 v[3:4], v[1:2], v[3:4]
	s_wait_alu 0xf1ff
	s_delay_alu instid0(VALU_DEP_1) | instskip(NEXT) | instid1(VALU_DEP_2)
	v_cndmask_b32_e64 v2, v2, v4, s45
	v_cndmask_b32_e64 v1, v1, v3, s45
	scratch_load_b64 v[3:4], off, off offset:112 th:TH_LOAD_LU ; 8-byte Folded Reload
	v_readlane_b32 s45, v250, 24
	s_wait_loadcnt 0x0
	v_add_f64_e32 v[3:4], v[1:2], v[3:4]
	s_wait_alu 0xf1ff
	s_delay_alu instid0(VALU_DEP_1) | instskip(NEXT) | instid1(VALU_DEP_2)
	v_cndmask_b32_e64 v2, v2, v4, s45
	v_cndmask_b32_e64 v1, v1, v3, s45
	scratch_load_b64 v[3:4], off, off offset:120 th:TH_LOAD_LU ; 8-byte Folded Reload
	v_readlane_b32 s45, v250, 25
	s_wait_loadcnt 0x0
	v_add_f64_e32 v[3:4], v[1:2], v[3:4]
	s_wait_alu 0xf1ff
	s_delay_alu instid0(VALU_DEP_1) | instskip(NEXT) | instid1(VALU_DEP_2)
	v_cndmask_b32_e64 v2, v2, v4, s45
	v_cndmask_b32_e64 v1, v1, v3, s45
	scratch_load_b64 v[3:4], off, off offset:128 th:TH_LOAD_LU ; 8-byte Folded Reload
	v_readlane_b32 s45, v250, 26
	s_wait_loadcnt 0x0
	v_add_f64_e32 v[3:4], v[1:2], v[3:4]
	s_wait_alu 0xf1ff
	s_delay_alu instid0(VALU_DEP_1) | instskip(NEXT) | instid1(VALU_DEP_2)
	v_cndmask_b32_e64 v2, v2, v4, s45
	v_cndmask_b32_e64 v1, v1, v3, s45
	scratch_load_b64 v[3:4], off, off offset:136 th:TH_LOAD_LU ; 8-byte Folded Reload
	v_readlane_b32 s45, v250, 27
	s_wait_loadcnt 0x0
	v_add_f64_e32 v[3:4], v[1:2], v[3:4]
	s_wait_alu 0xf1ff
	s_delay_alu instid0(VALU_DEP_1) | instskip(NEXT) | instid1(VALU_DEP_2)
	v_cndmask_b32_e64 v2, v2, v4, s45
	v_cndmask_b32_e64 v1, v1, v3, s45
	scratch_load_b64 v[3:4], off, off offset:144 th:TH_LOAD_LU ; 8-byte Folded Reload
	v_readlane_b32 s45, v250, 28
	s_wait_loadcnt 0x0
	v_add_f64_e32 v[3:4], v[1:2], v[3:4]
	s_wait_alu 0xf1ff
	s_delay_alu instid0(VALU_DEP_1) | instskip(NEXT) | instid1(VALU_DEP_2)
	v_cndmask_b32_e64 v2, v2, v4, s45
	v_cndmask_b32_e64 v1, v1, v3, s45
	scratch_load_b64 v[3:4], off, off offset:152 th:TH_LOAD_LU ; 8-byte Folded Reload
	v_readlane_b32 s45, v250, 29
	s_wait_loadcnt 0x0
	v_add_f64_e32 v[3:4], v[1:2], v[3:4]
	s_wait_alu 0xf1ff
	s_delay_alu instid0(VALU_DEP_1) | instskip(NEXT) | instid1(VALU_DEP_2)
	v_cndmask_b32_e64 v2, v2, v4, s45
	v_cndmask_b32_e64 v1, v1, v3, s45
	scratch_load_b64 v[3:4], off, off offset:160 th:TH_LOAD_LU ; 8-byte Folded Reload
	v_readlane_b32 s45, v250, 30
	s_wait_loadcnt 0x0
	v_add_f64_e32 v[3:4], v[1:2], v[3:4]
	s_wait_alu 0xf1ff
	s_delay_alu instid0(VALU_DEP_1) | instskip(NEXT) | instid1(VALU_DEP_2)
	v_cndmask_b32_e64 v2, v2, v4, s45
	v_cndmask_b32_e64 v1, v1, v3, s45
	scratch_load_b64 v[3:4], off, off offset:168 th:TH_LOAD_LU ; 8-byte Folded Reload
	v_readlane_b32 s45, v250, 31
	s_wait_loadcnt 0x0
	v_add_f64_e32 v[3:4], v[1:2], v[3:4]
	s_wait_alu 0xf1ff
	s_delay_alu instid0(VALU_DEP_1) | instskip(NEXT) | instid1(VALU_DEP_2)
	v_cndmask_b32_e64 v2, v2, v4, s45
	v_cndmask_b32_e64 v1, v1, v3, s45
	scratch_load_b64 v[3:4], off, off offset:176 th:TH_LOAD_LU ; 8-byte Folded Reload
	v_readlane_b32 s45, v251, 0
	s_wait_loadcnt 0x0
	v_add_f64_e32 v[3:4], v[1:2], v[3:4]
	s_wait_alu 0xf1ff
	s_delay_alu instid0(VALU_DEP_1) | instskip(NEXT) | instid1(VALU_DEP_2)
	v_cndmask_b32_e64 v2, v2, v4, s45
	v_cndmask_b32_e64 v1, v1, v3, s45
	scratch_load_b64 v[3:4], off, off offset:184 th:TH_LOAD_LU ; 8-byte Folded Reload
	v_readlane_b32 s45, v251, 1
	s_wait_loadcnt 0x0
	v_add_f64_e32 v[3:4], v[1:2], v[3:4]
	s_wait_alu 0xf1ff
	s_delay_alu instid0(VALU_DEP_1) | instskip(NEXT) | instid1(VALU_DEP_2)
	v_cndmask_b32_e64 v2, v2, v4, s45
	v_cndmask_b32_e64 v1, v1, v3, s45
	scratch_load_b64 v[3:4], off, off offset:192 th:TH_LOAD_LU ; 8-byte Folded Reload
	v_readlane_b32 s45, v251, 2
	s_wait_loadcnt 0x0
	v_add_f64_e32 v[3:4], v[1:2], v[3:4]
	s_wait_alu 0xf1ff
	s_delay_alu instid0(VALU_DEP_1) | instskip(NEXT) | instid1(VALU_DEP_2)
	v_cndmask_b32_e64 v2, v2, v4, s45
	v_cndmask_b32_e64 v1, v1, v3, s45
	scratch_load_b64 v[3:4], off, off offset:200 th:TH_LOAD_LU ; 8-byte Folded Reload
	v_readlane_b32 s45, v251, 3
	s_wait_loadcnt 0x0
	v_add_f64_e32 v[3:4], v[1:2], v[3:4]
	s_wait_alu 0xf1ff
	s_delay_alu instid0(VALU_DEP_1) | instskip(NEXT) | instid1(VALU_DEP_2)
	v_cndmask_b32_e64 v2, v2, v4, s45
	v_cndmask_b32_e64 v1, v1, v3, s45
	scratch_load_b64 v[3:4], off, off offset:208 th:TH_LOAD_LU ; 8-byte Folded Reload
	v_readlane_b32 s45, v251, 4
	s_wait_loadcnt 0x0
	v_add_f64_e32 v[3:4], v[1:2], v[3:4]
	s_wait_alu 0xf1ff
	s_delay_alu instid0(VALU_DEP_1) | instskip(NEXT) | instid1(VALU_DEP_2)
	v_cndmask_b32_e64 v2, v2, v4, s45
	v_cndmask_b32_e64 v1, v1, v3, s45
	scratch_load_b64 v[3:4], off, off offset:216 th:TH_LOAD_LU ; 8-byte Folded Reload
	v_readlane_b32 s45, v251, 5
	s_wait_loadcnt 0x0
	v_add_f64_e32 v[3:4], v[1:2], v[3:4]
	s_wait_alu 0xf1ff
	s_delay_alu instid0(VALU_DEP_1) | instskip(NEXT) | instid1(VALU_DEP_2)
	v_cndmask_b32_e64 v2, v2, v4, s45
	v_cndmask_b32_e64 v1, v1, v3, s45
	scratch_load_b64 v[3:4], off, off offset:224 th:TH_LOAD_LU ; 8-byte Folded Reload
	v_readlane_b32 s45, v251, 6
	s_wait_loadcnt 0x0
	v_add_f64_e32 v[3:4], v[1:2], v[3:4]
	s_wait_alu 0xf1ff
	s_delay_alu instid0(VALU_DEP_1) | instskip(NEXT) | instid1(VALU_DEP_2)
	v_cndmask_b32_e64 v2, v2, v4, s45
	v_cndmask_b32_e64 v1, v1, v3, s45
	scratch_load_b64 v[3:4], off, off offset:232 th:TH_LOAD_LU ; 8-byte Folded Reload
	v_readlane_b32 s45, v251, 7
	s_wait_loadcnt 0x0
	v_add_f64_e32 v[3:4], v[1:2], v[3:4]
	s_wait_alu 0xf1ff
	s_delay_alu instid0(VALU_DEP_1) | instskip(NEXT) | instid1(VALU_DEP_2)
	v_cndmask_b32_e64 v2, v2, v4, s45
	v_cndmask_b32_e64 v1, v1, v3, s45
	scratch_load_b64 v[3:4], off, off offset:240 th:TH_LOAD_LU ; 8-byte Folded Reload
	v_readlane_b32 s45, v251, 8
	s_wait_loadcnt 0x0
	v_add_f64_e32 v[3:4], v[1:2], v[3:4]
	s_wait_alu 0xf1ff
	s_delay_alu instid0(VALU_DEP_1) | instskip(NEXT) | instid1(VALU_DEP_2)
	v_cndmask_b32_e64 v2, v2, v4, s45
	v_cndmask_b32_e64 v1, v1, v3, s45
	scratch_load_b64 v[3:4], off, off offset:248 th:TH_LOAD_LU ; 8-byte Folded Reload
	v_readlane_b32 s45, v251, 9
	s_wait_loadcnt 0x0
	v_add_f64_e32 v[3:4], v[1:2], v[3:4]
	s_wait_alu 0xf1ff
	s_delay_alu instid0(VALU_DEP_1) | instskip(NEXT) | instid1(VALU_DEP_2)
	v_cndmask_b32_e64 v2, v2, v4, s45
	v_cndmask_b32_e64 v1, v1, v3, s45
	scratch_load_b64 v[3:4], off, off offset:256 th:TH_LOAD_LU ; 8-byte Folded Reload
	v_readlane_b32 s45, v251, 10
	s_wait_loadcnt 0x0
	v_add_f64_e32 v[3:4], v[1:2], v[3:4]
	s_wait_alu 0xf1ff
	s_delay_alu instid0(VALU_DEP_1) | instskip(NEXT) | instid1(VALU_DEP_2)
	v_cndmask_b32_e64 v2, v2, v4, s45
	v_cndmask_b32_e64 v1, v1, v3, s45
	scratch_load_b64 v[3:4], off, off offset:264 th:TH_LOAD_LU ; 8-byte Folded Reload
	v_readlane_b32 s45, v251, 11
	s_wait_loadcnt 0x0
	v_add_f64_e32 v[3:4], v[1:2], v[3:4]
	s_wait_alu 0xf1ff
	s_delay_alu instid0(VALU_DEP_1) | instskip(NEXT) | instid1(VALU_DEP_2)
	v_cndmask_b32_e64 v2, v2, v4, s45
	v_cndmask_b32_e64 v1, v1, v3, s45
	scratch_load_b64 v[3:4], off, off offset:272 th:TH_LOAD_LU ; 8-byte Folded Reload
	v_readlane_b32 s45, v251, 12
	s_wait_loadcnt 0x0
	v_add_f64_e32 v[3:4], v[1:2], v[3:4]
	s_wait_alu 0xf1ff
	s_delay_alu instid0(VALU_DEP_1) | instskip(NEXT) | instid1(VALU_DEP_2)
	v_cndmask_b32_e64 v2, v2, v4, s45
	v_cndmask_b32_e64 v1, v1, v3, s45
	scratch_load_b64 v[3:4], off, off offset:280 th:TH_LOAD_LU ; 8-byte Folded Reload
	v_readlane_b32 s45, v251, 13
	s_wait_loadcnt 0x0
	v_add_f64_e32 v[3:4], v[1:2], v[3:4]
	s_wait_alu 0xf1ff
	s_delay_alu instid0(VALU_DEP_1) | instskip(NEXT) | instid1(VALU_DEP_2)
	v_cndmask_b32_e64 v2, v2, v4, s45
	v_cndmask_b32_e64 v1, v1, v3, s45
	scratch_load_b64 v[3:4], off, off offset:288 th:TH_LOAD_LU ; 8-byte Folded Reload
	v_readlane_b32 s45, v251, 14
	s_wait_loadcnt 0x0
	v_add_f64_e32 v[3:4], v[1:2], v[3:4]
	s_wait_alu 0xf1ff
	s_delay_alu instid0(VALU_DEP_1) | instskip(NEXT) | instid1(VALU_DEP_2)
	v_cndmask_b32_e64 v2, v2, v4, s45
	v_cndmask_b32_e64 v1, v1, v3, s45
	scratch_load_b64 v[3:4], off, off offset:296 th:TH_LOAD_LU ; 8-byte Folded Reload
	v_readlane_b32 s45, v251, 15
	s_wait_loadcnt 0x0
	v_add_f64_e32 v[3:4], v[1:2], v[3:4]
	s_wait_alu 0xf1ff
	s_delay_alu instid0(VALU_DEP_1) | instskip(NEXT) | instid1(VALU_DEP_2)
	v_cndmask_b32_e64 v2, v2, v4, s45
	v_cndmask_b32_e64 v1, v1, v3, s45
	scratch_load_b64 v[3:4], off, off offset:304 th:TH_LOAD_LU ; 8-byte Folded Reload
	v_readlane_b32 s45, v251, 16
	s_wait_loadcnt 0x0
	v_add_f64_e32 v[3:4], v[1:2], v[3:4]
	s_wait_alu 0xf1ff
	s_delay_alu instid0(VALU_DEP_1) | instskip(NEXT) | instid1(VALU_DEP_2)
	v_cndmask_b32_e64 v2, v2, v4, s45
	v_cndmask_b32_e64 v1, v1, v3, s45
	scratch_load_b64 v[3:4], off, off offset:312 th:TH_LOAD_LU ; 8-byte Folded Reload
	v_readlane_b32 s45, v251, 17
	s_wait_loadcnt 0x0
	v_add_f64_e32 v[3:4], v[1:2], v[3:4]
	s_wait_alu 0xf1ff
	s_delay_alu instid0(VALU_DEP_1) | instskip(NEXT) | instid1(VALU_DEP_2)
	v_cndmask_b32_e64 v2, v2, v4, s45
	v_cndmask_b32_e64 v1, v1, v3, s45
	scratch_load_b64 v[3:4], off, off offset:320 th:TH_LOAD_LU ; 8-byte Folded Reload
	v_readlane_b32 s45, v251, 18
	s_wait_loadcnt 0x0
	v_add_f64_e32 v[3:4], v[1:2], v[3:4]
	s_wait_alu 0xf1ff
	s_delay_alu instid0(VALU_DEP_1) | instskip(NEXT) | instid1(VALU_DEP_2)
	v_cndmask_b32_e64 v2, v2, v4, s45
	v_cndmask_b32_e64 v1, v1, v3, s45
	scratch_load_b64 v[3:4], off, off offset:328 th:TH_LOAD_LU ; 8-byte Folded Reload
	v_readlane_b32 s45, v251, 19
	s_wait_loadcnt 0x0
	v_add_f64_e32 v[3:4], v[1:2], v[3:4]
	s_wait_alu 0xf1ff
	s_delay_alu instid0(VALU_DEP_1) | instskip(NEXT) | instid1(VALU_DEP_2)
	v_cndmask_b32_e64 v2, v2, v4, s45
	v_cndmask_b32_e64 v1, v1, v3, s45
	scratch_load_b64 v[3:4], off, off offset:336 th:TH_LOAD_LU ; 8-byte Folded Reload
	v_readlane_b32 s45, v251, 20
	s_wait_loadcnt 0x0
	v_add_f64_e32 v[3:4], v[1:2], v[3:4]
	s_wait_alu 0xf1ff
	s_delay_alu instid0(VALU_DEP_1) | instskip(NEXT) | instid1(VALU_DEP_2)
	v_cndmask_b32_e64 v2, v2, v4, s45
	v_cndmask_b32_e64 v1, v1, v3, s45
	scratch_load_b64 v[3:4], off, off offset:344 th:TH_LOAD_LU ; 8-byte Folded Reload
	v_readlane_b32 s45, v251, 21
	s_wait_loadcnt 0x0
	v_add_f64_e32 v[3:4], v[1:2], v[3:4]
	s_wait_alu 0xf1ff
	s_delay_alu instid0(VALU_DEP_1) | instskip(NEXT) | instid1(VALU_DEP_2)
	v_cndmask_b32_e64 v2, v2, v4, s45
	v_cndmask_b32_e64 v1, v1, v3, s45
	scratch_load_b64 v[3:4], off, off offset:352 th:TH_LOAD_LU ; 8-byte Folded Reload
	v_readlane_b32 s45, v251, 22
	s_wait_loadcnt 0x0
	v_add_f64_e32 v[3:4], v[1:2], v[3:4]
	s_wait_alu 0xf1ff
	s_delay_alu instid0(VALU_DEP_1) | instskip(NEXT) | instid1(VALU_DEP_2)
	v_cndmask_b32_e64 v2, v2, v4, s45
	v_cndmask_b32_e64 v1, v1, v3, s45
	scratch_load_b64 v[3:4], off, off offset:360 th:TH_LOAD_LU ; 8-byte Folded Reload
	v_readlane_b32 s45, v251, 23
	s_wait_loadcnt 0x0
	v_add_f64_e32 v[3:4], v[1:2], v[3:4]
	s_wait_alu 0xf1ff
	s_delay_alu instid0(VALU_DEP_1) | instskip(NEXT) | instid1(VALU_DEP_2)
	v_cndmask_b32_e64 v2, v2, v4, s45
	v_cndmask_b32_e64 v1, v1, v3, s45
	scratch_load_b64 v[3:4], off, off offset:368 th:TH_LOAD_LU ; 8-byte Folded Reload
	v_readlane_b32 s45, v251, 24
	s_wait_loadcnt 0x0
	v_add_f64_e32 v[3:4], v[1:2], v[3:4]
	s_wait_alu 0xf1ff
	s_delay_alu instid0(VALU_DEP_1) | instskip(NEXT) | instid1(VALU_DEP_2)
	v_cndmask_b32_e64 v2, v2, v4, s45
	v_cndmask_b32_e64 v1, v1, v3, s45
	scratch_load_b64 v[3:4], off, off offset:376 th:TH_LOAD_LU ; 8-byte Folded Reload
	v_readlane_b32 s45, v251, 25
	s_wait_loadcnt 0x0
	v_add_f64_e32 v[3:4], v[1:2], v[3:4]
	s_wait_alu 0xf1ff
	s_delay_alu instid0(VALU_DEP_1) | instskip(NEXT) | instid1(VALU_DEP_2)
	v_cndmask_b32_e64 v2, v2, v4, s45
	v_cndmask_b32_e64 v1, v1, v3, s45
	scratch_load_b64 v[3:4], off, off offset:384 th:TH_LOAD_LU ; 8-byte Folded Reload
	v_readlane_b32 s45, v251, 26
	s_wait_loadcnt 0x0
	v_add_f64_e32 v[3:4], v[1:2], v[3:4]
	s_wait_alu 0xf1ff
	s_delay_alu instid0(VALU_DEP_1) | instskip(NEXT) | instid1(VALU_DEP_2)
	v_cndmask_b32_e64 v2, v2, v4, s45
	v_cndmask_b32_e64 v1, v1, v3, s45
	scratch_load_b64 v[3:4], off, off offset:392 th:TH_LOAD_LU ; 8-byte Folded Reload
	v_readlane_b32 s45, v251, 27
	s_wait_loadcnt 0x0
	v_add_f64_e32 v[3:4], v[1:2], v[3:4]
	s_wait_alu 0xf1ff
	s_delay_alu instid0(VALU_DEP_1) | instskip(NEXT) | instid1(VALU_DEP_2)
	v_cndmask_b32_e64 v2, v2, v4, s45
	v_cndmask_b32_e64 v1, v1, v3, s45
	scratch_load_b64 v[3:4], off, off offset:400 th:TH_LOAD_LU ; 8-byte Folded Reload
	v_readlane_b32 s45, v251, 28
	s_wait_loadcnt 0x0
	v_add_f64_e32 v[3:4], v[1:2], v[3:4]
	s_wait_alu 0xf1ff
	s_delay_alu instid0(VALU_DEP_1) | instskip(NEXT) | instid1(VALU_DEP_2)
	v_cndmask_b32_e64 v2, v2, v4, s45
	v_cndmask_b32_e64 v1, v1, v3, s45
	scratch_load_b64 v[3:4], off, off offset:408 th:TH_LOAD_LU ; 8-byte Folded Reload
	v_readlane_b32 s45, v251, 29
	s_wait_loadcnt 0x0
	v_add_f64_e32 v[3:4], v[1:2], v[3:4]
	s_wait_alu 0xf1ff
	s_delay_alu instid0(VALU_DEP_1) | instskip(NEXT) | instid1(VALU_DEP_2)
	v_cndmask_b32_e64 v2, v2, v4, s45
	v_cndmask_b32_e64 v1, v1, v3, s45
	scratch_load_b64 v[3:4], off, off offset:416 th:TH_LOAD_LU ; 8-byte Folded Reload
	v_readlane_b32 s45, v251, 30
	s_wait_loadcnt 0x0
	v_add_f64_e32 v[3:4], v[1:2], v[3:4]
	s_wait_alu 0xf1ff
	s_delay_alu instid0(VALU_DEP_1) | instskip(NEXT) | instid1(VALU_DEP_2)
	v_cndmask_b32_e64 v2, v2, v4, s45
	v_cndmask_b32_e64 v1, v1, v3, s45
	scratch_load_b64 v[3:4], off, off offset:424 th:TH_LOAD_LU ; 8-byte Folded Reload
	v_readlane_b32 s45, v251, 31
	s_wait_loadcnt 0x0
	v_add_f64_e32 v[3:4], v[1:2], v[3:4]
	s_wait_alu 0xf1ff
	s_delay_alu instid0(VALU_DEP_1) | instskip(NEXT) | instid1(VALU_DEP_2)
	v_cndmask_b32_e64 v2, v2, v4, s45
	v_cndmask_b32_e64 v1, v1, v3, s45
	scratch_load_b64 v[3:4], off, off offset:432 th:TH_LOAD_LU ; 8-byte Folded Reload
	v_readlane_b32 s45, v252, 0
	s_wait_loadcnt 0x0
	v_add_f64_e32 v[3:4], v[1:2], v[3:4]
	s_wait_alu 0xf1ff
	s_delay_alu instid0(VALU_DEP_1) | instskip(NEXT) | instid1(VALU_DEP_2)
	v_cndmask_b32_e64 v2, v2, v4, s45
	v_cndmask_b32_e64 v1, v1, v3, s45
	scratch_load_b64 v[3:4], off, off offset:440 th:TH_LOAD_LU ; 8-byte Folded Reload
	v_readlane_b32 s45, v252, 1
	s_wait_loadcnt 0x0
	v_add_f64_e32 v[3:4], v[1:2], v[3:4]
	s_wait_alu 0xf1ff
	s_delay_alu instid0(VALU_DEP_1) | instskip(NEXT) | instid1(VALU_DEP_2)
	v_cndmask_b32_e64 v2, v2, v4, s45
	v_cndmask_b32_e64 v1, v1, v3, s45
	scratch_load_b64 v[3:4], off, off offset:448 th:TH_LOAD_LU ; 8-byte Folded Reload
	v_readlane_b32 s45, v252, 2
	s_wait_loadcnt 0x0
	v_add_f64_e32 v[3:4], v[1:2], v[3:4]
	s_wait_alu 0xf1ff
	s_delay_alu instid0(VALU_DEP_1) | instskip(NEXT) | instid1(VALU_DEP_2)
	v_cndmask_b32_e64 v2, v2, v4, s45
	v_cndmask_b32_e64 v1, v1, v3, s45
	scratch_load_b64 v[3:4], off, off offset:456 th:TH_LOAD_LU ; 8-byte Folded Reload
	v_readlane_b32 s45, v252, 3
	s_wait_loadcnt 0x0
	v_add_f64_e32 v[3:4], v[1:2], v[3:4]
	s_wait_alu 0xf1ff
	s_delay_alu instid0(VALU_DEP_1) | instskip(NEXT) | instid1(VALU_DEP_2)
	v_cndmask_b32_e64 v2, v2, v4, s45
	v_cndmask_b32_e64 v1, v1, v3, s45
	scratch_load_b64 v[3:4], off, off offset:464 th:TH_LOAD_LU ; 8-byte Folded Reload
	v_readlane_b32 s45, v252, 4
	s_wait_loadcnt 0x0
	v_add_f64_e32 v[3:4], v[1:2], v[3:4]
	s_wait_alu 0xf1ff
	s_delay_alu instid0(VALU_DEP_1) | instskip(NEXT) | instid1(VALU_DEP_2)
	v_cndmask_b32_e64 v2, v2, v4, s45
	v_cndmask_b32_e64 v1, v1, v3, s45
	scratch_load_b64 v[3:4], off, off offset:472 th:TH_LOAD_LU ; 8-byte Folded Reload
	v_readlane_b32 s45, v252, 5
	s_wait_loadcnt 0x0
	v_add_f64_e32 v[3:4], v[1:2], v[3:4]
	s_wait_alu 0xf1ff
	s_delay_alu instid0(VALU_DEP_1) | instskip(NEXT) | instid1(VALU_DEP_2)
	v_cndmask_b32_e64 v2, v2, v4, s45
	v_cndmask_b32_e64 v1, v1, v3, s45
	scratch_load_b64 v[3:4], off, off offset:480 th:TH_LOAD_LU ; 8-byte Folded Reload
	v_readlane_b32 s45, v252, 6
	s_wait_loadcnt 0x0
	v_add_f64_e32 v[3:4], v[1:2], v[3:4]
	s_wait_alu 0xf1ff
	s_delay_alu instid0(VALU_DEP_1) | instskip(NEXT) | instid1(VALU_DEP_2)
	v_cndmask_b32_e64 v2, v2, v4, s45
	v_cndmask_b32_e64 v1, v1, v3, s45
	scratch_load_b64 v[3:4], off, off offset:488 th:TH_LOAD_LU ; 8-byte Folded Reload
	v_readlane_b32 s45, v252, 7
	s_wait_loadcnt 0x0
	v_add_f64_e32 v[3:4], v[1:2], v[3:4]
	s_wait_alu 0xf1ff
	s_delay_alu instid0(VALU_DEP_1) | instskip(NEXT) | instid1(VALU_DEP_2)
	v_cndmask_b32_e64 v2, v2, v4, s45
	v_cndmask_b32_e64 v1, v1, v3, s45
	scratch_load_b64 v[3:4], off, off offset:496 th:TH_LOAD_LU ; 8-byte Folded Reload
	v_readlane_b32 s45, v252, 8
	s_wait_loadcnt 0x0
	v_add_f64_e32 v[3:4], v[1:2], v[3:4]
	s_wait_alu 0xf1ff
	s_delay_alu instid0(VALU_DEP_1) | instskip(NEXT) | instid1(VALU_DEP_2)
	v_cndmask_b32_e64 v2, v2, v4, s45
	v_cndmask_b32_e64 v1, v1, v3, s45
	scratch_load_b64 v[3:4], off, off offset:504 th:TH_LOAD_LU ; 8-byte Folded Reload
	v_readlane_b32 s45, v252, 9
	s_wait_loadcnt 0x0
	v_add_f64_e32 v[3:4], v[1:2], v[3:4]
	s_wait_alu 0xf1ff
	s_delay_alu instid0(VALU_DEP_1) | instskip(NEXT) | instid1(VALU_DEP_2)
	v_cndmask_b32_e64 v2, v2, v4, s45
	v_cndmask_b32_e64 v1, v1, v3, s45
	scratch_load_b64 v[3:4], off, off offset:512 th:TH_LOAD_LU ; 8-byte Folded Reload
	v_readlane_b32 s45, v252, 10
	s_wait_loadcnt 0x0
	v_add_f64_e32 v[3:4], v[1:2], v[3:4]
	s_wait_alu 0xf1ff
	s_delay_alu instid0(VALU_DEP_1) | instskip(NEXT) | instid1(VALU_DEP_2)
	v_cndmask_b32_e64 v2, v2, v4, s45
	v_cndmask_b32_e64 v1, v1, v3, s45
	scratch_load_b64 v[3:4], off, off offset:520 th:TH_LOAD_LU ; 8-byte Folded Reload
	v_readlane_b32 s45, v252, 11
	s_wait_loadcnt 0x0
	v_add_f64_e32 v[3:4], v[1:2], v[3:4]
	s_wait_alu 0xf1ff
	s_delay_alu instid0(VALU_DEP_1) | instskip(NEXT) | instid1(VALU_DEP_2)
	v_cndmask_b32_e64 v2, v2, v4, s45
	v_cndmask_b32_e64 v1, v1, v3, s45
	scratch_load_b64 v[3:4], off, off offset:528 th:TH_LOAD_LU ; 8-byte Folded Reload
	v_readlane_b32 s45, v252, 12
	s_wait_loadcnt 0x0
	v_add_f64_e32 v[3:4], v[1:2], v[3:4]
	s_wait_alu 0xf1ff
	s_delay_alu instid0(VALU_DEP_1) | instskip(NEXT) | instid1(VALU_DEP_2)
	v_cndmask_b32_e64 v2, v2, v4, s45
	v_cndmask_b32_e64 v1, v1, v3, s45
	scratch_load_b64 v[3:4], off, off offset:536 th:TH_LOAD_LU ; 8-byte Folded Reload
	v_readlane_b32 s45, v252, 13
	s_wait_loadcnt 0x0
	v_add_f64_e32 v[3:4], v[1:2], v[3:4]
	s_wait_alu 0xf1ff
	s_delay_alu instid0(VALU_DEP_1) | instskip(NEXT) | instid1(VALU_DEP_2)
	v_cndmask_b32_e64 v2, v2, v4, s45
	v_cndmask_b32_e64 v1, v1, v3, s45
	scratch_load_b64 v[3:4], off, off offset:544 th:TH_LOAD_LU ; 8-byte Folded Reload
	v_readlane_b32 s45, v252, 14
	s_wait_loadcnt 0x0
	v_add_f64_e32 v[3:4], v[1:2], v[3:4]
	s_wait_alu 0xf1ff
	s_delay_alu instid0(VALU_DEP_1) | instskip(NEXT) | instid1(VALU_DEP_2)
	v_cndmask_b32_e64 v2, v2, v4, s45
	v_cndmask_b32_e64 v1, v1, v3, s45
	scratch_load_b64 v[3:4], off, off offset:552 th:TH_LOAD_LU ; 8-byte Folded Reload
	v_readlane_b32 s45, v252, 15
	s_wait_loadcnt 0x0
	v_add_f64_e32 v[3:4], v[1:2], v[3:4]
	s_wait_alu 0xf1ff
	s_delay_alu instid0(VALU_DEP_1) | instskip(NEXT) | instid1(VALU_DEP_2)
	v_cndmask_b32_e64 v2, v2, v4, s45
	v_cndmask_b32_e64 v1, v1, v3, s45
	scratch_load_b64 v[3:4], off, off offset:560 th:TH_LOAD_LU ; 8-byte Folded Reload
	v_readlane_b32 s45, v252, 16
	s_wait_loadcnt 0x0
	v_add_f64_e32 v[3:4], v[1:2], v[3:4]
	s_wait_alu 0xf1ff
	s_delay_alu instid0(VALU_DEP_1) | instskip(NEXT) | instid1(VALU_DEP_2)
	v_cndmask_b32_e64 v2, v2, v4, s45
	v_cndmask_b32_e64 v1, v1, v3, s45
	scratch_load_b64 v[3:4], off, off offset:568 th:TH_LOAD_LU ; 8-byte Folded Reload
	v_readlane_b32 s45, v252, 17
	s_wait_loadcnt 0x0
	v_add_f64_e32 v[3:4], v[1:2], v[3:4]
	s_wait_alu 0xf1ff
	s_delay_alu instid0(VALU_DEP_1) | instskip(NEXT) | instid1(VALU_DEP_2)
	v_cndmask_b32_e64 v2, v2, v4, s45
	v_cndmask_b32_e64 v1, v1, v3, s45
	scratch_load_b64 v[3:4], off, off offset:576 th:TH_LOAD_LU ; 8-byte Folded Reload
	v_readlane_b32 s45, v252, 18
	s_wait_loadcnt 0x0
	v_add_f64_e32 v[3:4], v[1:2], v[3:4]
	s_wait_alu 0xf1ff
	s_delay_alu instid0(VALU_DEP_1) | instskip(NEXT) | instid1(VALU_DEP_2)
	v_cndmask_b32_e64 v2, v2, v4, s45
	v_cndmask_b32_e64 v1, v1, v3, s45
	scratch_load_b64 v[3:4], off, off offset:584 th:TH_LOAD_LU ; 8-byte Folded Reload
	v_readlane_b32 s45, v252, 19
	s_wait_loadcnt 0x0
	v_add_f64_e32 v[3:4], v[1:2], v[3:4]
	s_wait_alu 0xf1ff
	s_delay_alu instid0(VALU_DEP_1) | instskip(NEXT) | instid1(VALU_DEP_2)
	v_cndmask_b32_e64 v2, v2, v4, s45
	v_cndmask_b32_e64 v1, v1, v3, s45
	scratch_load_b64 v[3:4], off, off offset:592 th:TH_LOAD_LU ; 8-byte Folded Reload
	v_readlane_b32 s45, v252, 20
	s_wait_loadcnt 0x0
	v_add_f64_e32 v[3:4], v[1:2], v[3:4]
	s_wait_alu 0xf1ff
	s_delay_alu instid0(VALU_DEP_1) | instskip(NEXT) | instid1(VALU_DEP_2)
	v_cndmask_b32_e64 v2, v2, v4, s45
	v_cndmask_b32_e64 v1, v1, v3, s45
	scratch_load_b64 v[3:4], off, off offset:600 th:TH_LOAD_LU ; 8-byte Folded Reload
	v_readlane_b32 s45, v252, 21
	s_wait_loadcnt 0x0
	v_add_f64_e32 v[3:4], v[1:2], v[3:4]
	s_wait_alu 0xf1ff
	s_delay_alu instid0(VALU_DEP_1) | instskip(NEXT) | instid1(VALU_DEP_2)
	v_cndmask_b32_e64 v2, v2, v4, s45
	v_cndmask_b32_e64 v1, v1, v3, s45
	scratch_load_b64 v[3:4], off, off offset:608 th:TH_LOAD_LU ; 8-byte Folded Reload
	v_readlane_b32 s45, v252, 22
	s_wait_loadcnt 0x0
	v_add_f64_e32 v[3:4], v[1:2], v[3:4]
	s_wait_alu 0xf1ff
	s_delay_alu instid0(VALU_DEP_1) | instskip(NEXT) | instid1(VALU_DEP_2)
	v_cndmask_b32_e64 v2, v2, v4, s45
	v_cndmask_b32_e64 v1, v1, v3, s45
	scratch_load_b64 v[3:4], off, off offset:616 th:TH_LOAD_LU ; 8-byte Folded Reload
	v_readlane_b32 s45, v252, 23
	s_wait_loadcnt 0x0
	v_add_f64_e32 v[3:4], v[1:2], v[3:4]
	s_wait_alu 0xf1ff
	s_delay_alu instid0(VALU_DEP_1) | instskip(NEXT) | instid1(VALU_DEP_2)
	v_cndmask_b32_e64 v2, v2, v4, s45
	v_cndmask_b32_e64 v1, v1, v3, s45
	scratch_load_b64 v[3:4], off, off offset:624 th:TH_LOAD_LU ; 8-byte Folded Reload
	v_readlane_b32 s45, v252, 24
	s_wait_loadcnt 0x0
	v_add_f64_e32 v[3:4], v[1:2], v[3:4]
	s_wait_alu 0xf1ff
	s_delay_alu instid0(VALU_DEP_1) | instskip(NEXT) | instid1(VALU_DEP_2)
	v_cndmask_b32_e64 v2, v2, v4, s45
	v_cndmask_b32_e64 v1, v1, v3, s45
	scratch_load_b64 v[3:4], off, off offset:632 th:TH_LOAD_LU ; 8-byte Folded Reload
	v_readlane_b32 s45, v252, 25
	s_wait_loadcnt 0x0
	v_add_f64_e32 v[3:4], v[1:2], v[3:4]
	s_wait_alu 0xf1ff
	s_delay_alu instid0(VALU_DEP_1) | instskip(NEXT) | instid1(VALU_DEP_2)
	v_cndmask_b32_e64 v2, v2, v4, s45
	v_cndmask_b32_e64 v1, v1, v3, s45
	scratch_load_b64 v[3:4], off, off offset:640 th:TH_LOAD_LU ; 8-byte Folded Reload
	v_readlane_b32 s45, v252, 26
	s_wait_loadcnt 0x0
	v_add_f64_e32 v[3:4], v[1:2], v[3:4]
	s_wait_alu 0xf1ff
	s_delay_alu instid0(VALU_DEP_1) | instskip(NEXT) | instid1(VALU_DEP_2)
	v_cndmask_b32_e64 v2, v2, v4, s45
	v_cndmask_b32_e64 v1, v1, v3, s45
	scratch_load_b64 v[3:4], off, off offset:648 th:TH_LOAD_LU ; 8-byte Folded Reload
	v_readlane_b32 s45, v252, 27
	s_wait_loadcnt 0x0
	v_add_f64_e32 v[3:4], v[1:2], v[3:4]
	s_wait_alu 0xf1ff
	s_delay_alu instid0(VALU_DEP_1) | instskip(NEXT) | instid1(VALU_DEP_2)
	v_cndmask_b32_e64 v2, v2, v4, s45
	v_cndmask_b32_e64 v1, v1, v3, s45
	scratch_load_b64 v[3:4], off, off offset:656 th:TH_LOAD_LU ; 8-byte Folded Reload
	v_readlane_b32 s45, v252, 28
	s_wait_loadcnt 0x0
	v_add_f64_e32 v[3:4], v[1:2], v[3:4]
	s_wait_alu 0xf1ff
	s_delay_alu instid0(VALU_DEP_1) | instskip(NEXT) | instid1(VALU_DEP_2)
	v_cndmask_b32_e64 v2, v2, v4, s45
	v_cndmask_b32_e64 v1, v1, v3, s45
	scratch_load_b64 v[3:4], off, off offset:664 th:TH_LOAD_LU ; 8-byte Folded Reload
	v_readlane_b32 s45, v252, 29
	s_wait_loadcnt 0x0
	v_add_f64_e32 v[3:4], v[1:2], v[3:4]
	s_wait_alu 0xf1ff
	s_delay_alu instid0(VALU_DEP_1) | instskip(NEXT) | instid1(VALU_DEP_2)
	v_cndmask_b32_e64 v2, v2, v4, s45
	v_cndmask_b32_e64 v1, v1, v3, s45
	scratch_load_b64 v[3:4], off, off offset:672 th:TH_LOAD_LU ; 8-byte Folded Reload
	v_readlane_b32 s45, v252, 30
	s_wait_loadcnt 0x0
	v_add_f64_e32 v[3:4], v[1:2], v[3:4]
	s_wait_alu 0xf1ff
	s_delay_alu instid0(VALU_DEP_1) | instskip(NEXT) | instid1(VALU_DEP_2)
	v_cndmask_b32_e64 v2, v2, v4, s45
	v_cndmask_b32_e64 v1, v1, v3, s45
	scratch_load_b64 v[3:4], off, off offset:680 th:TH_LOAD_LU ; 8-byte Folded Reload
	v_readlane_b32 s45, v252, 31
	s_wait_loadcnt 0x0
	v_add_f64_e32 v[3:4], v[1:2], v[3:4]
	s_wait_alu 0xf1ff
	s_delay_alu instid0(VALU_DEP_1) | instskip(NEXT) | instid1(VALU_DEP_2)
	v_cndmask_b32_e64 v2, v2, v4, s45
	v_cndmask_b32_e64 v1, v1, v3, s45
	scratch_load_b64 v[3:4], off, off offset:688 th:TH_LOAD_LU ; 8-byte Folded Reload
	v_readlane_b32 s45, v253, 0
	s_wait_loadcnt 0x0
	v_add_f64_e32 v[3:4], v[1:2], v[3:4]
	s_wait_alu 0xf1ff
	s_delay_alu instid0(VALU_DEP_1) | instskip(NEXT) | instid1(VALU_DEP_2)
	v_cndmask_b32_e64 v2, v2, v4, s45
	v_cndmask_b32_e64 v1, v1, v3, s45
	scratch_load_b64 v[3:4], off, off offset:696 th:TH_LOAD_LU ; 8-byte Folded Reload
	v_readlane_b32 s45, v253, 1
	s_wait_loadcnt 0x0
	v_add_f64_e32 v[3:4], v[1:2], v[3:4]
	s_wait_alu 0xf1ff
	s_delay_alu instid0(VALU_DEP_1) | instskip(NEXT) | instid1(VALU_DEP_2)
	v_cndmask_b32_e64 v2, v2, v4, s45
	v_cndmask_b32_e64 v1, v1, v3, s45
	scratch_load_b64 v[3:4], off, off offset:704 th:TH_LOAD_LU ; 8-byte Folded Reload
	v_readlane_b32 s45, v253, 2
	s_wait_loadcnt 0x0
	v_add_f64_e32 v[3:4], v[1:2], v[3:4]
	s_wait_alu 0xf1ff
	s_delay_alu instid0(VALU_DEP_1) | instskip(NEXT) | instid1(VALU_DEP_2)
	v_cndmask_b32_e64 v2, v2, v4, s45
	v_cndmask_b32_e64 v1, v1, v3, s45
	scratch_load_b64 v[3:4], off, off offset:712 th:TH_LOAD_LU ; 8-byte Folded Reload
	v_readlane_b32 s45, v253, 3
	s_wait_loadcnt 0x0
	v_add_f64_e32 v[3:4], v[1:2], v[3:4]
	s_wait_alu 0xf1ff
	s_delay_alu instid0(VALU_DEP_1) | instskip(NEXT) | instid1(VALU_DEP_2)
	v_cndmask_b32_e64 v2, v2, v4, s45
	v_cndmask_b32_e64 v1, v1, v3, s45
	scratch_load_b64 v[3:4], off, off offset:720 th:TH_LOAD_LU ; 8-byte Folded Reload
	v_readlane_b32 s45, v253, 4
	s_wait_loadcnt 0x0
	v_add_f64_e32 v[3:4], v[1:2], v[3:4]
	s_wait_alu 0xf1ff
	s_delay_alu instid0(VALU_DEP_1) | instskip(NEXT) | instid1(VALU_DEP_2)
	v_cndmask_b32_e64 v2, v2, v4, s45
	v_cndmask_b32_e64 v1, v1, v3, s45
	scratch_load_b64 v[3:4], off, off offset:728 th:TH_LOAD_LU ; 8-byte Folded Reload
	v_readlane_b32 s45, v253, 5
	s_wait_loadcnt 0x0
	v_add_f64_e32 v[3:4], v[1:2], v[3:4]
	s_wait_alu 0xf1ff
	s_delay_alu instid0(VALU_DEP_1) | instskip(NEXT) | instid1(VALU_DEP_2)
	v_cndmask_b32_e64 v2, v2, v4, s45
	v_cndmask_b32_e64 v1, v1, v3, s45
	scratch_load_b64 v[3:4], off, off offset:736 th:TH_LOAD_LU ; 8-byte Folded Reload
	v_readlane_b32 s45, v253, 6
	s_wait_loadcnt 0x0
	v_add_f64_e32 v[3:4], v[1:2], v[3:4]
	s_wait_alu 0xf1ff
	s_delay_alu instid0(VALU_DEP_1) | instskip(NEXT) | instid1(VALU_DEP_2)
	v_cndmask_b32_e64 v2, v2, v4, s45
	v_cndmask_b32_e64 v1, v1, v3, s45
	scratch_load_b64 v[3:4], off, off offset:744 th:TH_LOAD_LU ; 8-byte Folded Reload
	v_readlane_b32 s45, v253, 7
	s_wait_loadcnt 0x0
	v_add_f64_e32 v[3:4], v[1:2], v[3:4]
	s_wait_alu 0xf1ff
	s_delay_alu instid0(VALU_DEP_1) | instskip(NEXT) | instid1(VALU_DEP_2)
	v_cndmask_b32_e64 v2, v2, v4, s45
	v_cndmask_b32_e64 v1, v1, v3, s45
	scratch_load_b64 v[3:4], off, off offset:752 th:TH_LOAD_LU ; 8-byte Folded Reload
	v_readlane_b32 s45, v253, 8
	s_wait_loadcnt 0x0
	v_add_f64_e32 v[3:4], v[1:2], v[3:4]
	s_wait_alu 0xf1ff
	s_delay_alu instid0(VALU_DEP_1) | instskip(NEXT) | instid1(VALU_DEP_2)
	v_cndmask_b32_e64 v2, v2, v4, s45
	v_cndmask_b32_e64 v1, v1, v3, s45
	scratch_load_b64 v[3:4], off, off offset:760 th:TH_LOAD_LU ; 8-byte Folded Reload
	v_readlane_b32 s45, v253, 9
	s_wait_loadcnt 0x0
	v_add_f64_e32 v[3:4], v[1:2], v[3:4]
	s_wait_alu 0xf1ff
	s_delay_alu instid0(VALU_DEP_1) | instskip(NEXT) | instid1(VALU_DEP_2)
	v_cndmask_b32_e64 v2, v2, v4, s45
	v_cndmask_b32_e64 v1, v1, v3, s45
	scratch_load_b64 v[3:4], off, off offset:768 th:TH_LOAD_LU ; 8-byte Folded Reload
	v_readlane_b32 s45, v253, 10
	s_wait_loadcnt 0x0
	v_add_f64_e32 v[3:4], v[1:2], v[3:4]
	s_wait_alu 0xf1ff
	s_delay_alu instid0(VALU_DEP_1) | instskip(NEXT) | instid1(VALU_DEP_2)
	v_cndmask_b32_e64 v2, v2, v4, s45
	v_cndmask_b32_e64 v1, v1, v3, s45
	scratch_load_b64 v[3:4], off, off offset:776 th:TH_LOAD_LU ; 8-byte Folded Reload
	v_readlane_b32 s45, v253, 11
	s_wait_loadcnt 0x0
	v_add_f64_e32 v[3:4], v[1:2], v[3:4]
	s_wait_alu 0xf1ff
	s_delay_alu instid0(VALU_DEP_1) | instskip(NEXT) | instid1(VALU_DEP_2)
	v_cndmask_b32_e64 v2, v2, v4, s45
	v_cndmask_b32_e64 v1, v1, v3, s45
	scratch_load_b64 v[3:4], off, off offset:784 th:TH_LOAD_LU ; 8-byte Folded Reload
	v_readlane_b32 s45, v253, 12
	s_wait_loadcnt 0x0
	v_add_f64_e32 v[3:4], v[1:2], v[3:4]
	s_wait_alu 0xf1ff
	s_delay_alu instid0(VALU_DEP_1) | instskip(NEXT) | instid1(VALU_DEP_2)
	v_cndmask_b32_e64 v2, v2, v4, s45
	v_cndmask_b32_e64 v1, v1, v3, s45
	scratch_load_b64 v[3:4], off, off offset:792 th:TH_LOAD_LU ; 8-byte Folded Reload
	v_readlane_b32 s45, v253, 13
	s_wait_loadcnt 0x0
	v_add_f64_e32 v[3:4], v[1:2], v[3:4]
	s_wait_alu 0xf1ff
	s_delay_alu instid0(VALU_DEP_1) | instskip(NEXT) | instid1(VALU_DEP_2)
	v_cndmask_b32_e64 v2, v2, v4, s45
	v_cndmask_b32_e64 v1, v1, v3, s45
	scratch_load_b64 v[3:4], off, off offset:800 th:TH_LOAD_LU ; 8-byte Folded Reload
	v_readlane_b32 s45, v253, 14
	s_wait_loadcnt 0x0
	v_add_f64_e32 v[3:4], v[1:2], v[3:4]
	s_wait_alu 0xf1ff
	s_delay_alu instid0(VALU_DEP_1) | instskip(NEXT) | instid1(VALU_DEP_2)
	v_cndmask_b32_e64 v2, v2, v4, s45
	v_cndmask_b32_e64 v1, v1, v3, s45
	scratch_load_b64 v[3:4], off, off offset:808 th:TH_LOAD_LU ; 8-byte Folded Reload
	v_readlane_b32 s45, v253, 15
	s_wait_loadcnt 0x0
	v_add_f64_e32 v[3:4], v[1:2], v[3:4]
	s_wait_alu 0xf1ff
	s_delay_alu instid0(VALU_DEP_1) | instskip(NEXT) | instid1(VALU_DEP_2)
	v_cndmask_b32_e64 v2, v2, v4, s45
	v_cndmask_b32_e64 v1, v1, v3, s45
	scratch_load_b64 v[3:4], off, off offset:816 th:TH_LOAD_LU ; 8-byte Folded Reload
	v_readlane_b32 s45, v253, 16
	s_wait_loadcnt 0x0
	v_add_f64_e32 v[3:4], v[1:2], v[3:4]
	s_wait_alu 0xf1ff
	s_delay_alu instid0(VALU_DEP_1) | instskip(NEXT) | instid1(VALU_DEP_2)
	v_cndmask_b32_e64 v2, v2, v4, s45
	v_cndmask_b32_e64 v1, v1, v3, s45
	scratch_load_b64 v[3:4], off, off offset:824 th:TH_LOAD_LU ; 8-byte Folded Reload
	v_readlane_b32 s45, v253, 17
	s_wait_loadcnt 0x0
	v_add_f64_e32 v[3:4], v[1:2], v[3:4]
	s_wait_alu 0xf1ff
	s_delay_alu instid0(VALU_DEP_1) | instskip(NEXT) | instid1(VALU_DEP_2)
	v_cndmask_b32_e64 v2, v2, v4, s45
	v_cndmask_b32_e64 v1, v1, v3, s45
	scratch_load_b64 v[3:4], off, off offset:832 th:TH_LOAD_LU ; 8-byte Folded Reload
	v_readlane_b32 s45, v253, 18
	s_wait_loadcnt 0x0
	v_add_f64_e32 v[3:4], v[1:2], v[3:4]
	s_wait_alu 0xf1ff
	s_delay_alu instid0(VALU_DEP_1) | instskip(NEXT) | instid1(VALU_DEP_2)
	v_cndmask_b32_e64 v2, v2, v4, s45
	v_cndmask_b32_e64 v1, v1, v3, s45
	scratch_load_b64 v[3:4], off, off offset:840 th:TH_LOAD_LU ; 8-byte Folded Reload
	v_readlane_b32 s45, v253, 19
	s_wait_loadcnt 0x0
	v_add_f64_e32 v[3:4], v[1:2], v[3:4]
	s_wait_alu 0xf1ff
	s_delay_alu instid0(VALU_DEP_1) | instskip(NEXT) | instid1(VALU_DEP_2)
	v_cndmask_b32_e64 v2, v2, v4, s45
	v_cndmask_b32_e64 v1, v1, v3, s45
	scratch_load_b64 v[3:4], off, off offset:848 th:TH_LOAD_LU ; 8-byte Folded Reload
	v_readlane_b32 s45, v253, 20
	s_wait_loadcnt 0x0
	v_add_f64_e32 v[3:4], v[1:2], v[3:4]
	s_wait_alu 0xf1ff
	s_delay_alu instid0(VALU_DEP_1) | instskip(NEXT) | instid1(VALU_DEP_2)
	v_cndmask_b32_e64 v2, v2, v4, s45
	v_cndmask_b32_e64 v1, v1, v3, s45
	scratch_load_b64 v[3:4], off, off offset:856 th:TH_LOAD_LU ; 8-byte Folded Reload
	v_readlane_b32 s45, v253, 21
	s_wait_loadcnt 0x0
	v_add_f64_e32 v[3:4], v[1:2], v[3:4]
	s_wait_alu 0xf1ff
	s_delay_alu instid0(VALU_DEP_1) | instskip(NEXT) | instid1(VALU_DEP_2)
	v_cndmask_b32_e64 v2, v2, v4, s45
	v_cndmask_b32_e64 v1, v1, v3, s45
	scratch_load_b64 v[3:4], off, off offset:864 th:TH_LOAD_LU ; 8-byte Folded Reload
	v_readlane_b32 s45, v253, 22
	s_wait_loadcnt 0x0
	v_add_f64_e32 v[3:4], v[1:2], v[3:4]
	s_wait_alu 0xf1ff
	s_delay_alu instid0(VALU_DEP_1) | instskip(NEXT) | instid1(VALU_DEP_2)
	v_cndmask_b32_e64 v2, v2, v4, s45
	v_cndmask_b32_e64 v1, v1, v3, s45
	scratch_load_b64 v[3:4], off, off offset:872 th:TH_LOAD_LU ; 8-byte Folded Reload
	v_readlane_b32 s45, v253, 23
	s_wait_loadcnt 0x0
	v_add_f64_e32 v[3:4], v[1:2], v[3:4]
	s_wait_alu 0xf1ff
	s_delay_alu instid0(VALU_DEP_1) | instskip(NEXT) | instid1(VALU_DEP_2)
	v_cndmask_b32_e64 v2, v2, v4, s45
	v_cndmask_b32_e64 v1, v1, v3, s45
	scratch_load_b64 v[3:4], off, off offset:880 th:TH_LOAD_LU ; 8-byte Folded Reload
	v_readlane_b32 s45, v253, 24
	s_wait_loadcnt 0x0
	v_add_f64_e32 v[3:4], v[1:2], v[3:4]
	s_wait_alu 0xf1ff
	s_delay_alu instid0(VALU_DEP_1) | instskip(NEXT) | instid1(VALU_DEP_2)
	v_cndmask_b32_e64 v2, v2, v4, s45
	v_cndmask_b32_e64 v1, v1, v3, s45
	scratch_load_b64 v[3:4], off, off offset:888 th:TH_LOAD_LU ; 8-byte Folded Reload
	v_readlane_b32 s45, v253, 25
	s_wait_loadcnt 0x0
	v_add_f64_e32 v[3:4], v[1:2], v[3:4]
	s_wait_alu 0xf1ff
	s_delay_alu instid0(VALU_DEP_1) | instskip(NEXT) | instid1(VALU_DEP_2)
	v_cndmask_b32_e64 v2, v2, v4, s45
	v_cndmask_b32_e64 v1, v1, v3, s45
	scratch_load_b64 v[3:4], off, off offset:896 th:TH_LOAD_LU ; 8-byte Folded Reload
	v_readlane_b32 s45, v253, 26
	s_wait_loadcnt 0x0
	v_add_f64_e32 v[3:4], v[1:2], v[3:4]
	s_wait_alu 0xf1ff
	s_delay_alu instid0(VALU_DEP_1) | instskip(NEXT) | instid1(VALU_DEP_2)
	v_cndmask_b32_e64 v2, v2, v4, s45
	v_cndmask_b32_e64 v1, v1, v3, s45
	scratch_load_b64 v[3:4], off, off offset:904 th:TH_LOAD_LU ; 8-byte Folded Reload
	v_readlane_b32 s45, v253, 27
	s_wait_loadcnt 0x0
	v_add_f64_e32 v[3:4], v[1:2], v[3:4]
	s_wait_alu 0xf1ff
	s_delay_alu instid0(VALU_DEP_1) | instskip(NEXT) | instid1(VALU_DEP_2)
	v_cndmask_b32_e64 v2, v2, v4, s45
	v_cndmask_b32_e64 v1, v1, v3, s45
	scratch_load_b64 v[3:4], off, off offset:912 th:TH_LOAD_LU ; 8-byte Folded Reload
	v_readlane_b32 s45, v253, 28
	s_wait_loadcnt 0x0
	v_add_f64_e32 v[3:4], v[1:2], v[3:4]
	s_wait_alu 0xf1ff
	s_delay_alu instid0(VALU_DEP_1) | instskip(NEXT) | instid1(VALU_DEP_2)
	v_cndmask_b32_e64 v2, v2, v4, s45
	v_cndmask_b32_e64 v1, v1, v3, s45
	scratch_load_b64 v[3:4], off, off offset:920 th:TH_LOAD_LU ; 8-byte Folded Reload
	v_readlane_b32 s45, v253, 29
	s_wait_loadcnt 0x0
	v_add_f64_e32 v[3:4], v[1:2], v[3:4]
	s_wait_alu 0xf1ff
	s_delay_alu instid0(VALU_DEP_1) | instskip(NEXT) | instid1(VALU_DEP_2)
	v_cndmask_b32_e64 v2, v2, v4, s45
	v_cndmask_b32_e64 v1, v1, v3, s45
	scratch_load_b64 v[3:4], off, off offset:928 th:TH_LOAD_LU ; 8-byte Folded Reload
	v_readlane_b32 s45, v253, 30
	s_wait_loadcnt 0x0
	v_add_f64_e32 v[3:4], v[1:2], v[3:4]
	s_wait_alu 0xf1ff
	s_delay_alu instid0(VALU_DEP_1) | instskip(NEXT) | instid1(VALU_DEP_2)
	v_cndmask_b32_e64 v2, v2, v4, s45
	v_cndmask_b32_e64 v1, v1, v3, s45
	scratch_load_b64 v[3:4], off, off offset:936 th:TH_LOAD_LU ; 8-byte Folded Reload
	v_readlane_b32 s45, v253, 31
	s_wait_loadcnt 0x0
	v_add_f64_e32 v[3:4], v[1:2], v[3:4]
	s_wait_alu 0xf1ff
	s_delay_alu instid0(VALU_DEP_1) | instskip(NEXT) | instid1(VALU_DEP_2)
	v_cndmask_b32_e64 v2, v2, v4, s45
	v_cndmask_b32_e64 v1, v1, v3, s45
	scratch_load_b64 v[3:4], off, off offset:944 th:TH_LOAD_LU ; 8-byte Folded Reload
	v_readlane_b32 s45, v254, 0
	s_wait_loadcnt 0x0
	v_add_f64_e32 v[3:4], v[1:2], v[3:4]
	s_wait_alu 0xf1ff
	s_delay_alu instid0(VALU_DEP_1) | instskip(NEXT) | instid1(VALU_DEP_2)
	v_cndmask_b32_e64 v2, v2, v4, s45
	v_cndmask_b32_e64 v1, v1, v3, s45
	scratch_load_b64 v[3:4], off, off offset:952 th:TH_LOAD_LU ; 8-byte Folded Reload
	v_readlane_b32 s45, v254, 1
	s_wait_loadcnt 0x0
	v_add_f64_e32 v[3:4], v[1:2], v[3:4]
	s_wait_alu 0xf1ff
	s_delay_alu instid0(VALU_DEP_1) | instskip(NEXT) | instid1(VALU_DEP_2)
	v_cndmask_b32_e64 v2, v2, v4, s45
	v_cndmask_b32_e64 v1, v1, v3, s45
	scratch_load_b64 v[3:4], off, off offset:960 th:TH_LOAD_LU ; 8-byte Folded Reload
	v_readlane_b32 s45, v254, 2
	s_wait_loadcnt 0x0
	v_add_f64_e32 v[3:4], v[1:2], v[3:4]
	s_wait_alu 0xf1ff
	s_delay_alu instid0(VALU_DEP_1) | instskip(NEXT) | instid1(VALU_DEP_2)
	v_cndmask_b32_e64 v2, v2, v4, s45
	v_cndmask_b32_e64 v1, v1, v3, s45
	scratch_load_b64 v[3:4], off, off offset:968 th:TH_LOAD_LU ; 8-byte Folded Reload
	v_readlane_b32 s45, v254, 3
	s_wait_loadcnt 0x0
	v_add_f64_e32 v[3:4], v[1:2], v[3:4]
	s_wait_alu 0xf1ff
	s_delay_alu instid0(VALU_DEP_1) | instskip(NEXT) | instid1(VALU_DEP_2)
	v_cndmask_b32_e64 v2, v2, v4, s45
	v_cndmask_b32_e64 v1, v1, v3, s45
	scratch_load_b64 v[3:4], off, off offset:976 th:TH_LOAD_LU ; 8-byte Folded Reload
	v_readlane_b32 s45, v254, 4
	s_wait_loadcnt 0x0
	v_add_f64_e32 v[3:4], v[1:2], v[3:4]
	s_wait_alu 0xf1ff
	s_delay_alu instid0(VALU_DEP_1) | instskip(NEXT) | instid1(VALU_DEP_2)
	v_cndmask_b32_e64 v2, v2, v4, s45
	v_cndmask_b32_e64 v1, v1, v3, s45
	scratch_load_b64 v[3:4], off, off offset:984 th:TH_LOAD_LU ; 8-byte Folded Reload
	v_readlane_b32 s45, v254, 5
	s_wait_loadcnt 0x0
	v_add_f64_e32 v[3:4], v[1:2], v[3:4]
	s_wait_alu 0xf1ff
	s_delay_alu instid0(VALU_DEP_1) | instskip(NEXT) | instid1(VALU_DEP_2)
	v_cndmask_b32_e64 v2, v2, v4, s45
	v_cndmask_b32_e64 v1, v1, v3, s45
	scratch_load_b64 v[3:4], off, off offset:992 th:TH_LOAD_LU ; 8-byte Folded Reload
	v_readlane_b32 s45, v254, 6
	s_wait_loadcnt 0x0
	v_add_f64_e32 v[3:4], v[1:2], v[3:4]
	s_wait_alu 0xf1ff
	s_delay_alu instid0(VALU_DEP_1) | instskip(NEXT) | instid1(VALU_DEP_2)
	v_cndmask_b32_e64 v2, v2, v4, s45
	v_cndmask_b32_e64 v1, v1, v3, s45
	scratch_load_b64 v[3:4], off, off offset:1000 th:TH_LOAD_LU ; 8-byte Folded Reload
	v_readlane_b32 s45, v254, 7
	s_wait_loadcnt 0x0
	v_add_f64_e32 v[3:4], v[1:2], v[3:4]
	s_wait_alu 0xf1ff
	s_delay_alu instid0(VALU_DEP_1) | instskip(NEXT) | instid1(VALU_DEP_2)
	v_cndmask_b32_e64 v2, v2, v4, s45
	v_cndmask_b32_e64 v1, v1, v3, s45
	scratch_load_b64 v[3:4], off, off offset:1008 th:TH_LOAD_LU ; 8-byte Folded Reload
	v_readlane_b32 s45, v254, 8
	s_wait_loadcnt 0x0
	v_add_f64_e32 v[3:4], v[1:2], v[3:4]
	s_wait_alu 0xf1ff
	s_delay_alu instid0(VALU_DEP_1) | instskip(NEXT) | instid1(VALU_DEP_2)
	v_cndmask_b32_e64 v2, v2, v4, s45
	v_cndmask_b32_e64 v1, v1, v3, s45
	scratch_load_b64 v[3:4], off, off offset:1016 th:TH_LOAD_LU ; 8-byte Folded Reload
	v_readlane_b32 s45, v254, 9
	s_wait_loadcnt 0x0
	v_add_f64_e32 v[3:4], v[1:2], v[3:4]
	s_wait_alu 0xf1ff
	s_delay_alu instid0(VALU_DEP_1) | instskip(NEXT) | instid1(VALU_DEP_2)
	v_cndmask_b32_e64 v2, v2, v4, s45
	v_cndmask_b32_e64 v1, v1, v3, s45
	scratch_load_b64 v[3:4], off, off offset:1024 th:TH_LOAD_LU ; 8-byte Folded Reload
	v_readlane_b32 s45, v254, 10
	s_wait_loadcnt 0x0
	v_add_f64_e32 v[3:4], v[1:2], v[3:4]
	s_wait_alu 0xf1ff
	s_delay_alu instid0(VALU_DEP_1) | instskip(NEXT) | instid1(VALU_DEP_2)
	v_cndmask_b32_e64 v2, v2, v4, s45
	v_cndmask_b32_e64 v1, v1, v3, s45
	scratch_load_b64 v[3:4], off, off offset:1032 th:TH_LOAD_LU ; 8-byte Folded Reload
	v_readlane_b32 s45, v254, 11
	s_wait_loadcnt 0x0
	v_add_f64_e32 v[3:4], v[1:2], v[3:4]
	s_wait_alu 0xf1ff
	s_delay_alu instid0(VALU_DEP_1) | instskip(NEXT) | instid1(VALU_DEP_2)
	v_cndmask_b32_e64 v2, v2, v4, s45
	v_cndmask_b32_e64 v1, v1, v3, s45
	scratch_load_b64 v[3:4], off, off offset:1040 th:TH_LOAD_LU ; 8-byte Folded Reload
	v_readlane_b32 s45, v254, 12
	s_wait_loadcnt 0x0
	v_add_f64_e32 v[3:4], v[1:2], v[3:4]
	s_wait_alu 0xf1ff
	s_delay_alu instid0(VALU_DEP_1) | instskip(NEXT) | instid1(VALU_DEP_2)
	v_cndmask_b32_e64 v2, v2, v4, s45
	v_cndmask_b32_e64 v1, v1, v3, s45
	scratch_load_b64 v[3:4], off, off offset:1048 th:TH_LOAD_LU ; 8-byte Folded Reload
	v_readlane_b32 s45, v254, 13
	s_wait_loadcnt 0x0
	v_add_f64_e32 v[3:4], v[1:2], v[3:4]
	s_wait_alu 0xf1ff
	s_delay_alu instid0(VALU_DEP_1) | instskip(NEXT) | instid1(VALU_DEP_2)
	v_cndmask_b32_e64 v2, v2, v4, s45
	v_cndmask_b32_e64 v1, v1, v3, s45
	scratch_load_b64 v[3:4], off, off offset:1056 th:TH_LOAD_LU ; 8-byte Folded Reload
	v_readlane_b32 s45, v254, 14
	s_wait_loadcnt 0x0
	v_add_f64_e32 v[3:4], v[1:2], v[3:4]
	s_wait_alu 0xf1ff
	s_delay_alu instid0(VALU_DEP_1) | instskip(NEXT) | instid1(VALU_DEP_2)
	v_cndmask_b32_e64 v2, v2, v4, s45
	v_cndmask_b32_e64 v1, v1, v3, s45
	v_readlane_b32 s45, v254, 15
	s_delay_alu instid0(VALU_DEP_2) | instskip(SKIP_1) | instid1(VALU_DEP_1)
	v_add_f64_e32 v[3:4], v[1:2], v[27:28]
	s_wait_alu 0xf1ff
	v_cndmask_b32_e64 v2, v2, v4, s45
	s_delay_alu instid0(VALU_DEP_2) | instskip(SKIP_1) | instid1(VALU_DEP_2)
	v_cndmask_b32_e64 v1, v1, v3, s45
	v_readlane_b32 s45, v254, 16
	v_add_f64_e32 v[3:4], v[1:2], v[29:30]
	s_wait_alu 0xf1ff
	s_delay_alu instid0(VALU_DEP_1) | instskip(NEXT) | instid1(VALU_DEP_2)
	v_cndmask_b32_e64 v2, v2, v4, s45
	v_cndmask_b32_e64 v1, v1, v3, s45
	v_readlane_b32 s45, v254, 17
	s_delay_alu instid0(VALU_DEP_2) | instskip(SKIP_1) | instid1(VALU_DEP_1)
	v_add_f64_e32 v[3:4], v[1:2], v[31:32]
	s_wait_alu 0xf1ff
	v_cndmask_b32_e64 v2, v2, v4, s45
	s_delay_alu instid0(VALU_DEP_2) | instskip(SKIP_1) | instid1(VALU_DEP_2)
	v_cndmask_b32_e64 v1, v1, v3, s45
	v_readlane_b32 s45, v254, 18
	;; [unrolled: 13-line block ×9, first 2 shown]
	v_add_f64_e32 v[3:4], v[1:2], v[61:62]
	s_wait_alu 0xf1ff
	s_delay_alu instid0(VALU_DEP_1) | instskip(NEXT) | instid1(VALU_DEP_2)
	v_cndmask_b32_e64 v2, v2, v4, s45
	v_cndmask_b32_e64 v1, v1, v3, s45
	v_readlane_b32 s45, v249, 1
	s_delay_alu instid0(VALU_DEP_2) | instskip(SKIP_1) | instid1(VALU_DEP_1)
	v_add_f64_e32 v[3:4], v[1:2], v[63:64]
	s_wait_alu 0xf1ff
	v_cndmask_b32_e64 v2, v2, v4, s45
	s_delay_alu instid0(VALU_DEP_2) | instskip(NEXT) | instid1(VALU_DEP_1)
	v_cndmask_b32_e64 v1, v1, v3, s45
	v_add_f64_e32 v[3:4], v[1:2], v[65:66]
	s_delay_alu instid0(VALU_DEP_1) | instskip(NEXT) | instid1(VALU_DEP_2)
	v_cndmask_b32_e64 v2, v2, v4, s47
	v_cndmask_b32_e64 v1, v1, v3, s47
	s_delay_alu instid0(VALU_DEP_1) | instskip(NEXT) | instid1(VALU_DEP_1)
	v_add_f64_e32 v[3:4], v[1:2], v[67:68]
	v_cndmask_b32_e64 v2, v2, v4, s48
	s_delay_alu instid0(VALU_DEP_2) | instskip(NEXT) | instid1(VALU_DEP_1)
	v_cndmask_b32_e64 v1, v1, v3, s48
	v_add_f64_e32 v[3:4], v[1:2], v[69:70]
	s_delay_alu instid0(VALU_DEP_1) | instskip(NEXT) | instid1(VALU_DEP_2)
	v_cndmask_b32_e64 v2, v2, v4, s49
	v_cndmask_b32_e64 v1, v1, v3, s49
	s_delay_alu instid0(VALU_DEP_1) | instskip(NEXT) | instid1(VALU_DEP_1)
	v_add_f64_e32 v[3:4], v[1:2], v[71:72]
	;; [unrolled: 9-line block ×29, first 2 shown]
	v_cndmask_b32_e64 v2, v2, v4, s104
	s_delay_alu instid0(VALU_DEP_2) | instskip(NEXT) | instid1(VALU_DEP_1)
	v_cndmask_b32_e64 v1, v1, v3, s104
	v_add_f64_e32 v[3:4], v[1:2], v[181:182]
	s_delay_alu instid0(VALU_DEP_1) | instskip(NEXT) | instid1(VALU_DEP_2)
	v_cndmask_b32_e64 v2, v2, v4, vcc_hi
	v_cndmask_b32_e64 v1, v1, v3, vcc_hi
	s_delay_alu instid0(VALU_DEP_1) | instskip(NEXT) | instid1(VALU_DEP_1)
	v_add_f64_e32 v[3:4], v[1:2], v[183:184]
	v_cndmask_b32_e64 v2, v2, v4, s0
	s_delay_alu instid0(VALU_DEP_2) | instskip(SKIP_1) | instid1(VALU_DEP_1)
	v_cndmask_b32_e64 v1, v1, v3, s0
	s_min_u32 s0, s44, 0x100
	v_add_f64_e32 v[3:4], v[1:2], v[185:186]
	s_delay_alu instid0(VALU_DEP_1) | instskip(NEXT) | instid1(VALU_DEP_2)
	v_cndmask_b32_e64 v2, v2, v4, s1
	v_cndmask_b32_e64 v1, v1, v3, s1
	s_mov_b32 s1, exec_lo
	s_delay_alu instid0(VALU_DEP_1) | instskip(NEXT) | instid1(VALU_DEP_1)
	v_add_f64_e32 v[3:4], v[1:2], v[187:188]
	v_cndmask_b32_e64 v2, v2, v4, s2
	s_delay_alu instid0(VALU_DEP_2) | instskip(NEXT) | instid1(VALU_DEP_1)
	v_cndmask_b32_e64 v1, v1, v3, s2
	v_add_f64_e32 v[3:4], v[1:2], v[189:190]
	s_delay_alu instid0(VALU_DEP_1) | instskip(NEXT) | instid1(VALU_DEP_2)
	v_cndmask_b32_e64 v2, v2, v4, s3
	v_cndmask_b32_e64 v1, v1, v3, s3
	s_delay_alu instid0(VALU_DEP_1) | instskip(NEXT) | instid1(VALU_DEP_1)
	v_add_f64_e32 v[3:4], v[1:2], v[191:192]
	v_cndmask_b32_e64 v2, v2, v4, s4
	s_delay_alu instid0(VALU_DEP_2) | instskip(NEXT) | instid1(VALU_DEP_1)
	v_cndmask_b32_e64 v1, v1, v3, s4
	v_add_f64_e32 v[3:4], v[1:2], v[193:194]
	s_delay_alu instid0(VALU_DEP_1) | instskip(NEXT) | instid1(VALU_DEP_2)
	v_cndmask_b32_e64 v2, v2, v4, s5
	v_cndmask_b32_e64 v1, v1, v3, s5
	;; [unrolled: 9-line block ×15, first 2 shown]
	s_delay_alu instid0(VALU_DEP_1) | instskip(NEXT) | instid1(VALU_DEP_1)
	v_add_f64_e32 v[3:4], v[1:2], v[247:248]
	v_cndmask_b32_e64 v2, v2, v4, s33
	s_delay_alu instid0(VALU_DEP_2) | instskip(NEXT) | instid1(VALU_DEP_1)
	v_cndmask_b32_e64 v1, v1, v3, s33
	v_add_f64_e32 v[3:4], v[1:2], v[5:6]
	v_mbcnt_lo_u32_b32 v5, -1, 0
	s_delay_alu instid0(VALU_DEP_2) | instskip(NEXT) | instid1(VALU_DEP_3)
	v_cndmask_b32_e64 v2, v2, v4, s34
	v_cndmask_b32_e64 v1, v1, v3, s34
	s_delay_alu instid0(VALU_DEP_1) | instskip(NEXT) | instid1(VALU_DEP_4)
	v_add_f64_e32 v[3:4], v[1:2], v[7:8]
	v_add_nc_u32_e32 v7, 1, v5
	s_delay_alu instid0(VALU_DEP_2) | instskip(NEXT) | instid1(VALU_DEP_3)
	v_cndmask_b32_e64 v2, v2, v4, s35
	v_cndmask_b32_e64 v1, v1, v3, s35
	s_delay_alu instid0(VALU_DEP_1) | instskip(NEXT) | instid1(VALU_DEP_1)
	v_add_f64_e32 v[3:4], v[1:2], v[9:10]
	v_cndmask_b32_e64 v2, v2, v4, s36
	s_delay_alu instid0(VALU_DEP_2) | instskip(NEXT) | instid1(VALU_DEP_1)
	v_cndmask_b32_e64 v1, v1, v3, s36
	v_add_f64_e32 v[3:4], v[1:2], v[11:12]
	s_delay_alu instid0(VALU_DEP_1) | instskip(NEXT) | instid1(VALU_DEP_2)
	v_cndmask_b32_e64 v2, v2, v4, s37
	v_cndmask_b32_e64 v1, v1, v3, s37
	s_delay_alu instid0(VALU_DEP_1) | instskip(NEXT) | instid1(VALU_DEP_1)
	v_add_f64_e32 v[3:4], v[1:2], v[13:14]
	v_cndmask_b32_e64 v2, v2, v4, s38
	s_delay_alu instid0(VALU_DEP_2) | instskip(NEXT) | instid1(VALU_DEP_1)
	v_cndmask_b32_e64 v1, v1, v3, s38
	v_add_f64_e32 v[3:4], v[1:2], v[15:16]
	s_delay_alu instid0(VALU_DEP_1) | instskip(NEXT) | instid1(VALU_DEP_2)
	;; [unrolled: 9-line block ×3, first 2 shown]
	v_cndmask_b32_e64 v2, v2, v4, s41
	v_cndmask_b32_e64 v1, v1, v3, s41
	s_delay_alu instid0(VALU_DEP_1) | instskip(NEXT) | instid1(VALU_DEP_1)
	v_add_f64_e32 v[3:4], v[1:2], v[21:22]
	v_cndmask_b32_e64 v2, v2, v4, s42
	s_delay_alu instid0(VALU_DEP_2) | instskip(NEXT) | instid1(VALU_DEP_1)
	v_cndmask_b32_e64 v1, v1, v3, s42
	v_add_f64_e32 v[3:4], v[1:2], v[23:24]
	s_delay_alu instid0(VALU_DEP_1) | instskip(SKIP_1) | instid1(VALU_DEP_2)
	v_dual_cndmask_b32 v2, v2, v4 :: v_dual_cndmask_b32 v1, v1, v3
	v_cmp_ne_u32_e32 vcc_lo, 31, v5
	v_add_f64_e32 v[3:4], v[1:2], v[25:26]
	s_wait_alu 0xfffd
	v_add_co_ci_u32_e32 v6, vcc_lo, 0, v5, vcc_lo
	s_delay_alu instid0(VALU_DEP_1) | instskip(NEXT) | instid1(VALU_DEP_3)
	v_lshlrev_b32_e32 v6, 2, v6
	v_cndmask_b32_e64 v3, v1, v3, s43
	s_delay_alu instid0(VALU_DEP_4) | instskip(SKIP_4) | instid1(VALU_DEP_1)
	v_cndmask_b32_e64 v4, v2, v4, s43
	ds_bpermute_b32 v1, v6, v3
	ds_bpermute_b32 v2, v6, v4
	v_and_b32_e32 v6, 0xe0, v0
	s_wait_alu 0xfffe
	v_sub_nc_u32_e64 v6, s0, v6 clamp
	s_delay_alu instid0(VALU_DEP_1)
	v_cmpx_lt_u32_e64 v7, v6
	s_cbranch_execz .LBB7_521
; %bb.520:
	s_wait_dscnt 0x0
	v_add_f64_e32 v[3:4], v[3:4], v[1:2]
.LBB7_521:
	s_or_b32 exec_lo, exec_lo, s1
	v_cmp_gt_u32_e32 vcc_lo, 30, v5
	v_add_nc_u32_e32 v7, 2, v5
	s_mov_b32 s1, exec_lo
	s_wait_dscnt 0x1
	s_wait_alu 0xfffd
	v_cndmask_b32_e64 v1, 0, 1, vcc_lo
	s_delay_alu instid0(VALU_DEP_1) | instskip(SKIP_1) | instid1(VALU_DEP_1)
	v_lshlrev_b32_e32 v1, 1, v1
	s_wait_dscnt 0x0
	v_add_lshl_u32 v2, v1, v5, 2
	ds_bpermute_b32 v1, v2, v3
	ds_bpermute_b32 v2, v2, v4
	v_cmpx_lt_u32_e64 v7, v6
	s_cbranch_execz .LBB7_523
; %bb.522:
	s_wait_dscnt 0x0
	v_add_f64_e32 v[3:4], v[3:4], v[1:2]
.LBB7_523:
	s_wait_alu 0xfffe
	s_or_b32 exec_lo, exec_lo, s1
	v_cmp_gt_u32_e32 vcc_lo, 28, v5
	v_add_nc_u32_e32 v7, 4, v5
	s_mov_b32 s1, exec_lo
	s_wait_dscnt 0x1
	s_wait_alu 0xfffd
	v_cndmask_b32_e64 v1, 0, 1, vcc_lo
	s_delay_alu instid0(VALU_DEP_1) | instskip(SKIP_1) | instid1(VALU_DEP_1)
	v_lshlrev_b32_e32 v1, 2, v1
	s_wait_dscnt 0x0
	v_add_lshl_u32 v2, v1, v5, 2
	ds_bpermute_b32 v1, v2, v3
	ds_bpermute_b32 v2, v2, v4
	v_cmpx_lt_u32_e64 v7, v6
	s_cbranch_execz .LBB7_525
; %bb.524:
	s_wait_dscnt 0x0
	v_add_f64_e32 v[3:4], v[3:4], v[1:2]
.LBB7_525:
	s_wait_alu 0xfffe
	;; [unrolled: 20-line block ×4, first 2 shown]
	s_or_b32 exec_lo, exec_lo, s1
	s_delay_alu instid0(SALU_CYCLE_1)
	s_mov_b32 s1, exec_lo
	v_cmpx_eq_u32_e32 0, v5
	s_cbranch_execz .LBB7_531
; %bb.530:
	s_wait_dscnt 0x1
	v_lshrrev_b32_e32 v1, 2, v0
	s_delay_alu instid0(VALU_DEP_1)
	v_and_b32_e32 v1, 56, v1
	ds_store_b64 v1, v[3:4] offset:64
.LBB7_531:
	s_wait_alu 0xfffe
	s_or_b32 exec_lo, exec_lo, s1
	s_delay_alu instid0(SALU_CYCLE_1)
	s_mov_b32 s1, exec_lo
	global_wb scope:SCOPE_SE
	s_wait_storecnt_dscnt 0x0
	s_barrier_signal -1
	s_barrier_wait -1
	global_inv scope:SCOPE_SE
	v_cmpx_gt_u32_e32 8, v0
	s_cbranch_execz .LBB7_539
; %bb.532:
	v_lshlrev_b32_e32 v1, 3, v5
	v_and_b32_e32 v6, 7, v5
	s_add_co_i32 s0, s0, 31
	s_mov_b32 s2, exec_lo
	s_wait_alu 0xfffe
	s_lshr_b32 s0, s0, 5
	ds_load_b64 v[3:4], v1 offset:64
	v_cmp_ne_u32_e32 vcc_lo, 7, v6
	v_add_nc_u32_e32 v7, 1, v6
	s_wait_alu 0xfffd
	v_add_co_ci_u32_e32 v1, vcc_lo, 0, v5, vcc_lo
	s_delay_alu instid0(VALU_DEP_1)
	v_lshlrev_b32_e32 v2, 2, v1
	s_wait_dscnt 0x0
	ds_bpermute_b32 v1, v2, v3
	ds_bpermute_b32 v2, v2, v4
	s_wait_alu 0xfffe
	v_cmpx_gt_u32_e64 s0, v7
	s_cbranch_execz .LBB7_534
; %bb.533:
	s_wait_dscnt 0x0
	v_add_f64_e32 v[3:4], v[3:4], v[1:2]
.LBB7_534:
	s_or_b32 exec_lo, exec_lo, s2
	v_cmp_gt_u32_e32 vcc_lo, 6, v6
	v_add_nc_u32_e32 v7, 2, v6
	s_mov_b32 s2, exec_lo
	s_wait_dscnt 0x1
	s_wait_alu 0xfffd
	v_cndmask_b32_e64 v1, 0, 1, vcc_lo
	s_delay_alu instid0(VALU_DEP_1) | instskip(SKIP_1) | instid1(VALU_DEP_1)
	v_lshlrev_b32_e32 v1, 1, v1
	s_wait_dscnt 0x0
	v_add_lshl_u32 v2, v1, v5, 2
	ds_bpermute_b32 v1, v2, v3
	ds_bpermute_b32 v2, v2, v4
	v_cmpx_gt_u32_e64 s0, v7
	s_cbranch_execz .LBB7_536
; %bb.535:
	s_wait_dscnt 0x0
	v_add_f64_e32 v[3:4], v[3:4], v[1:2]
.LBB7_536:
	s_wait_alu 0xfffe
	s_or_b32 exec_lo, exec_lo, s2
	v_cmp_gt_u32_e32 vcc_lo, 4, v6
	s_wait_dscnt 0x1
	s_wait_alu 0xfffd
	v_cndmask_b32_e64 v1, 0, 1, vcc_lo
	s_delay_alu instid0(VALU_DEP_1) | instskip(SKIP_1) | instid1(VALU_DEP_1)
	v_lshlrev_b32_e32 v1, 2, v1
	s_wait_dscnt 0x0
	v_add_lshl_u32 v2, v1, v5, 2
	v_add_nc_u32_e32 v5, 4, v6
	ds_bpermute_b32 v1, v2, v3
	ds_bpermute_b32 v2, v2, v4
	v_cmp_gt_u32_e32 vcc_lo, s0, v5
	s_and_saveexec_b32 s0, vcc_lo
	s_cbranch_execz .LBB7_538
; %bb.537:
	s_wait_dscnt 0x0
	v_add_f64_e32 v[3:4], v[3:4], v[1:2]
.LBB7_538:
	s_wait_alu 0xfffe
	s_or_b32 exec_lo, exec_lo, s0
.LBB7_539:
	s_wait_alu 0xfffe
	s_or_b32 exec_lo, exec_lo, s1
.LBB7_540:
	s_delay_alu instid0(SALU_CYCLE_1)
	s_mov_b32 s0, exec_lo
	v_cmpx_eq_u32_e32 0, v0
	s_cbranch_execz .LBB7_542
; %bb.541:
	v_readlane_b32 s0, v250, 0
	v_readlane_b32 s6, v250, 6
	;; [unrolled: 1-line block ×7, first 2 shown]
	s_wait_dscnt 0x1
	s_wait_alu 0xf1ff
	v_add_f64_e32 v[0:1], s[6:7], v[3:4]
	v_readlane_b32 s3, v250, 3
	v_readlane_b32 s4, v250, 4
	s_wait_alu 0xfffe
	s_lshl_b64 s[0:1], s[0:1], 3
	v_readlane_b32 s5, v250, 5
	s_wait_dscnt 0x0
	v_mov_b32_e32 v2, 0
	s_cmp_eq_u64 s[2:3], 0
	s_cselect_b32 s2, -1, 0
	s_wait_alu 0xfffe
	s_add_nc_u64 s[0:1], s[4:5], s[0:1]
	v_cndmask_b32_e64 v1, v1, s7, s2
	v_cndmask_b32_e64 v0, v0, s6, s2
	global_store_b64 v2, v[0:1], s[0:1]
.LBB7_542:
	s_nop 0
	s_sendmsg sendmsg(MSG_DEALLOC_VGPRS)
	s_endpgm
	.section	.rodata,"a",@progbits
	.p2align	6, 0x0
	.amdhsa_kernel _ZN7rocprim6detail19block_reduce_kernelILb1ELb1ELj16ENS0_21wrapped_reduce_configINS_14default_configEdEEdPdS5_dN6thrust4plusIdEEEEvT4_mT5_T6_T7_
		.amdhsa_group_segment_fixed_size 128
		.amdhsa_private_segment_fixed_size 1068
		.amdhsa_kernarg_size 36
		.amdhsa_user_sgpr_count 2
		.amdhsa_user_sgpr_dispatch_ptr 0
		.amdhsa_user_sgpr_queue_ptr 0
		.amdhsa_user_sgpr_kernarg_segment_ptr 1
		.amdhsa_user_sgpr_dispatch_id 0
		.amdhsa_user_sgpr_private_segment_size 0
		.amdhsa_wavefront_size32 1
		.amdhsa_uses_dynamic_stack 0
		.amdhsa_enable_private_segment 1
		.amdhsa_system_sgpr_workgroup_id_x 1
		.amdhsa_system_sgpr_workgroup_id_y 0
		.amdhsa_system_sgpr_workgroup_id_z 0
		.amdhsa_system_sgpr_workgroup_info 0
		.amdhsa_system_vgpr_workitem_id 0
		.amdhsa_next_free_vgpr 255
		.amdhsa_next_free_sgpr 105
		.amdhsa_reserve_vcc 1
		.amdhsa_float_round_mode_32 0
		.amdhsa_float_round_mode_16_64 0
		.amdhsa_float_denorm_mode_32 3
		.amdhsa_float_denorm_mode_16_64 3
		.amdhsa_fp16_overflow 0
		.amdhsa_workgroup_processor_mode 1
		.amdhsa_memory_ordered 1
		.amdhsa_forward_progress 0
		.amdhsa_round_robin_scheduling 0
		.amdhsa_exception_fp_ieee_invalid_op 0
		.amdhsa_exception_fp_denorm_src 0
		.amdhsa_exception_fp_ieee_div_zero 0
		.amdhsa_exception_fp_ieee_overflow 0
		.amdhsa_exception_fp_ieee_underflow 0
		.amdhsa_exception_fp_ieee_inexact 0
		.amdhsa_exception_int_div_zero 0
	.end_amdhsa_kernel
	.section	.text._ZN7rocprim6detail19block_reduce_kernelILb1ELb1ELj16ENS0_21wrapped_reduce_configINS_14default_configEdEEdPdS5_dN6thrust4plusIdEEEEvT4_mT5_T6_T7_,"axG",@progbits,_ZN7rocprim6detail19block_reduce_kernelILb1ELb1ELj16ENS0_21wrapped_reduce_configINS_14default_configEdEEdPdS5_dN6thrust4plusIdEEEEvT4_mT5_T6_T7_,comdat
.Lfunc_end7:
	.size	_ZN7rocprim6detail19block_reduce_kernelILb1ELb1ELj16ENS0_21wrapped_reduce_configINS_14default_configEdEEdPdS5_dN6thrust4plusIdEEEEvT4_mT5_T6_T7_, .Lfunc_end7-_ZN7rocprim6detail19block_reduce_kernelILb1ELb1ELj16ENS0_21wrapped_reduce_configINS_14default_configEdEEdPdS5_dN6thrust4plusIdEEEEvT4_mT5_T6_T7_
                                        ; -- End function
	.section	.AMDGPU.csdata,"",@progbits
; Kernel info:
; codeLenInByte = 33272
; NumSgprs: 107
; NumVgprs: 255
; ScratchSize: 1068
; MemoryBound: 1
; FloatMode: 240
; IeeeMode: 1
; LDSByteSize: 128 bytes/workgroup (compile time only)
; SGPRBlocks: 13
; VGPRBlocks: 31
; NumSGPRsForWavesPerEU: 107
; NumVGPRsForWavesPerEU: 255
; Occupancy: 5
; WaveLimiterHint : 1
; COMPUTE_PGM_RSRC2:SCRATCH_EN: 1
; COMPUTE_PGM_RSRC2:USER_SGPR: 2
; COMPUTE_PGM_RSRC2:TRAP_HANDLER: 0
; COMPUTE_PGM_RSRC2:TGID_X_EN: 1
; COMPUTE_PGM_RSRC2:TGID_Y_EN: 0
; COMPUTE_PGM_RSRC2:TGID_Z_EN: 0
; COMPUTE_PGM_RSRC2:TIDIG_COMP_CNT: 0
	.section	.text._ZN7rocprim6detail19block_reduce_kernelILb1ELb0ELj16ENS0_21wrapped_reduce_configINS_14default_configEdEEdPdS5_dN6thrust4plusIdEEEEvT4_mT5_T6_T7_,"axG",@progbits,_ZN7rocprim6detail19block_reduce_kernelILb1ELb0ELj16ENS0_21wrapped_reduce_configINS_14default_configEdEEdPdS5_dN6thrust4plusIdEEEEvT4_mT5_T6_T7_,comdat
	.protected	_ZN7rocprim6detail19block_reduce_kernelILb1ELb0ELj16ENS0_21wrapped_reduce_configINS_14default_configEdEEdPdS5_dN6thrust4plusIdEEEEvT4_mT5_T6_T7_ ; -- Begin function _ZN7rocprim6detail19block_reduce_kernelILb1ELb0ELj16ENS0_21wrapped_reduce_configINS_14default_configEdEEdPdS5_dN6thrust4plusIdEEEEvT4_mT5_T6_T7_
	.globl	_ZN7rocprim6detail19block_reduce_kernelILb1ELb0ELj16ENS0_21wrapped_reduce_configINS_14default_configEdEEdPdS5_dN6thrust4plusIdEEEEvT4_mT5_T6_T7_
	.p2align	8
	.type	_ZN7rocprim6detail19block_reduce_kernelILb1ELb0ELj16ENS0_21wrapped_reduce_configINS_14default_configEdEEdPdS5_dN6thrust4plusIdEEEEvT4_mT5_T6_T7_,@function
_ZN7rocprim6detail19block_reduce_kernelILb1ELb0ELj16ENS0_21wrapped_reduce_configINS_14default_configEdEEdPdS5_dN6thrust4plusIdEEEEvT4_mT5_T6_T7_: ; @_ZN7rocprim6detail19block_reduce_kernelILb1ELb0ELj16ENS0_21wrapped_reduce_configINS_14default_configEdEEdPdS5_dN6thrust4plusIdEEEEvT4_mT5_T6_T7_
; %bb.0:
	s_load_b256 s[0:7], s[0:1], 0x0
	s_mov_b32 s11, 0
	v_mbcnt_lo_u32_b32 v5, -1, 0
	s_mov_b32 s8, ttmp9
	s_mov_b32 s9, s11
	s_lshl_b32 s10, ttmp9, 8
	s_wait_kmcnt 0x0
	s_lshr_b64 s[12:13], s[2:3], 8
	s_delay_alu instid0(SALU_CYCLE_1)
	s_cmp_lg_u64 s[12:13], s[8:9]
	s_cbranch_scc0 .LBB8_6
; %bb.1:
	v_lshlrev_b32_e32 v1, 3, v0
	s_lshl_b64 s[12:13], s[10:11], 3
	s_delay_alu instid0(SALU_CYCLE_1)
	s_add_nc_u64 s[12:13], s[0:1], s[12:13]
	global_load_b64 v[1:2], v1, s[12:13]
	s_mov_b32 s12, exec_lo
	s_wait_loadcnt 0x0
	v_mov_b32_dpp v3, v1 quad_perm:[1,0,3,2] row_mask:0xf bank_mask:0xf
	v_mov_b32_dpp v4, v2 quad_perm:[1,0,3,2] row_mask:0xf bank_mask:0xf
	s_delay_alu instid0(VALU_DEP_1) | instskip(NEXT) | instid1(VALU_DEP_1)
	v_add_f64_e32 v[1:2], v[1:2], v[3:4]
	v_mov_b32_dpp v3, v1 quad_perm:[2,3,0,1] row_mask:0xf bank_mask:0xf
	s_delay_alu instid0(VALU_DEP_2) | instskip(NEXT) | instid1(VALU_DEP_1)
	v_mov_b32_dpp v4, v2 quad_perm:[2,3,0,1] row_mask:0xf bank_mask:0xf
	v_add_f64_e32 v[1:2], v[1:2], v[3:4]
	s_delay_alu instid0(VALU_DEP_1) | instskip(NEXT) | instid1(VALU_DEP_2)
	v_mov_b32_dpp v3, v1 row_ror:4 row_mask:0xf bank_mask:0xf
	v_mov_b32_dpp v4, v2 row_ror:4 row_mask:0xf bank_mask:0xf
	s_delay_alu instid0(VALU_DEP_1) | instskip(NEXT) | instid1(VALU_DEP_1)
	v_add_f64_e32 v[1:2], v[1:2], v[3:4]
	v_mov_b32_dpp v3, v1 row_ror:8 row_mask:0xf bank_mask:0xf
	s_delay_alu instid0(VALU_DEP_2) | instskip(NEXT) | instid1(VALU_DEP_1)
	v_mov_b32_dpp v4, v2 row_ror:8 row_mask:0xf bank_mask:0xf
	v_add_f64_e32 v[1:2], v[1:2], v[3:4]
	ds_swizzle_b32 v3, v1 offset:swizzle(BROADCAST,32,15)
	ds_swizzle_b32 v4, v2 offset:swizzle(BROADCAST,32,15)
	s_wait_dscnt 0x0
	v_add_f64_e32 v[1:2], v[1:2], v[3:4]
	v_mov_b32_e32 v3, 0
	ds_bpermute_b32 v1, v3, v1 offset:124
	ds_bpermute_b32 v2, v3, v2 offset:124
	v_cmpx_eq_u32_e32 0, v5
	s_cbranch_execz .LBB8_3
; %bb.2:
	v_lshrrev_b32_e32 v3, 2, v0
	s_delay_alu instid0(VALU_DEP_1)
	v_and_b32_e32 v3, 56, v3
	s_wait_dscnt 0x0
	ds_store_b64 v3, v[1:2]
.LBB8_3:
	s_or_b32 exec_lo, exec_lo, s12
	s_delay_alu instid0(SALU_CYCLE_1)
	s_mov_b32 s12, exec_lo
	global_wb scope:SCOPE_SE
	s_wait_dscnt 0x0
	s_barrier_signal -1
	s_barrier_wait -1
	global_inv scope:SCOPE_SE
	v_cmpx_gt_u32_e32 32, v0
	s_cbranch_execz .LBB8_5
; %bb.4:
	v_and_b32_e32 v6, 7, v5
	s_delay_alu instid0(VALU_DEP_1) | instskip(SKIP_4) | instid1(VALU_DEP_2)
	v_lshlrev_b32_e32 v1, 3, v6
	v_cmp_ne_u32_e32 vcc_lo, 7, v6
	ds_load_b64 v[1:2], v1
	v_add_co_ci_u32_e32 v3, vcc_lo, 0, v5, vcc_lo
	v_cmp_gt_u32_e32 vcc_lo, 6, v6
	v_lshlrev_b32_e32 v4, 2, v3
	s_wait_dscnt 0x0
	ds_bpermute_b32 v3, v4, v1
	ds_bpermute_b32 v4, v4, v2
	s_wait_dscnt 0x0
	v_add_f64_e32 v[1:2], v[1:2], v[3:4]
	s_wait_alu 0xfffd
	v_cndmask_b32_e64 v3, 0, 1, vcc_lo
	v_cmp_gt_u32_e32 vcc_lo, 4, v6
	s_delay_alu instid0(VALU_DEP_2) | instskip(NEXT) | instid1(VALU_DEP_1)
	v_lshlrev_b32_e32 v3, 1, v3
	v_add_lshl_u32 v4, v3, v5, 2
	ds_bpermute_b32 v3, v4, v1
	ds_bpermute_b32 v4, v4, v2
	s_wait_dscnt 0x0
	v_add_f64_e32 v[1:2], v[1:2], v[3:4]
	s_wait_alu 0xfffd
	v_cndmask_b32_e64 v3, 0, 1, vcc_lo
	s_delay_alu instid0(VALU_DEP_1) | instskip(NEXT) | instid1(VALU_DEP_1)
	v_lshlrev_b32_e32 v3, 2, v3
	v_add_lshl_u32 v4, v3, v5, 2
	ds_bpermute_b32 v3, v4, v1
	ds_bpermute_b32 v4, v4, v2
	s_wait_dscnt 0x0
	v_add_f64_e32 v[1:2], v[1:2], v[3:4]
.LBB8_5:
	s_or_b32 exec_lo, exec_lo, s12
	s_branch .LBB8_30
.LBB8_6:
                                        ; implicit-def: $vgpr1_vgpr2
	s_cbranch_execz .LBB8_30
; %bb.7:
	s_sub_co_i32 s12, s2, s10
	s_mov_b32 s13, exec_lo
                                        ; implicit-def: $vgpr1_vgpr2
	v_cmpx_gt_u32_e64 s12, v0
	s_cbranch_execz .LBB8_9
; %bb.8:
	v_lshlrev_b32_e32 v1, 3, v0
	s_lshl_b64 s[10:11], s[10:11], 3
	s_delay_alu instid0(SALU_CYCLE_1)
	s_add_nc_u64 s[0:1], s[0:1], s[10:11]
	global_load_b64 v[1:2], v1, s[0:1]
.LBB8_9:
	s_or_b32 exec_lo, exec_lo, s13
	v_cmp_ne_u32_e32 vcc_lo, 31, v5
	v_and_b32_e32 v6, 0xe0, v0
	s_min_u32 s0, s12, 0x100
	v_add_nc_u32_e32 v7, 1, v5
	s_mov_b32 s1, exec_lo
	v_add_co_ci_u32_e32 v3, vcc_lo, 0, v5, vcc_lo
	v_sub_nc_u32_e64 v6, s0, v6 clamp
	s_delay_alu instid0(VALU_DEP_2)
	v_lshlrev_b32_e32 v4, 2, v3
	s_wait_loadcnt 0x0
	ds_bpermute_b32 v3, v4, v1
	ds_bpermute_b32 v4, v4, v2
	v_cmpx_lt_u32_e64 v7, v6
	s_cbranch_execz .LBB8_11
; %bb.10:
	s_wait_dscnt 0x0
	v_add_f64_e32 v[1:2], v[1:2], v[3:4]
.LBB8_11:
	s_or_b32 exec_lo, exec_lo, s1
	v_cmp_gt_u32_e32 vcc_lo, 30, v5
	v_add_nc_u32_e32 v7, 2, v5
	s_mov_b32 s1, exec_lo
	s_wait_dscnt 0x1
	s_wait_alu 0xfffd
	v_cndmask_b32_e64 v3, 0, 1, vcc_lo
	s_delay_alu instid0(VALU_DEP_1) | instskip(SKIP_1) | instid1(VALU_DEP_1)
	v_lshlrev_b32_e32 v3, 1, v3
	s_wait_dscnt 0x0
	v_add_lshl_u32 v4, v3, v5, 2
	ds_bpermute_b32 v3, v4, v1
	ds_bpermute_b32 v4, v4, v2
	v_cmpx_lt_u32_e64 v7, v6
	s_cbranch_execz .LBB8_13
; %bb.12:
	s_wait_dscnt 0x0
	v_add_f64_e32 v[1:2], v[1:2], v[3:4]
.LBB8_13:
	s_wait_alu 0xfffe
	s_or_b32 exec_lo, exec_lo, s1
	v_cmp_gt_u32_e32 vcc_lo, 28, v5
	v_add_nc_u32_e32 v7, 4, v5
	s_mov_b32 s1, exec_lo
	s_wait_dscnt 0x1
	s_wait_alu 0xfffd
	v_cndmask_b32_e64 v3, 0, 1, vcc_lo
	s_delay_alu instid0(VALU_DEP_1) | instskip(SKIP_1) | instid1(VALU_DEP_1)
	v_lshlrev_b32_e32 v3, 2, v3
	s_wait_dscnt 0x0
	v_add_lshl_u32 v4, v3, v5, 2
	ds_bpermute_b32 v3, v4, v1
	ds_bpermute_b32 v4, v4, v2
	v_cmpx_lt_u32_e64 v7, v6
	s_cbranch_execz .LBB8_15
; %bb.14:
	s_wait_dscnt 0x0
	v_add_f64_e32 v[1:2], v[1:2], v[3:4]
.LBB8_15:
	s_wait_alu 0xfffe
	s_or_b32 exec_lo, exec_lo, s1
	v_cmp_gt_u32_e32 vcc_lo, 24, v5
	v_add_nc_u32_e32 v7, 8, v5
	s_mov_b32 s1, exec_lo
	s_wait_dscnt 0x1
	s_wait_alu 0xfffd
	v_cndmask_b32_e64 v3, 0, 1, vcc_lo
	s_delay_alu instid0(VALU_DEP_1) | instskip(SKIP_1) | instid1(VALU_DEP_1)
	v_lshlrev_b32_e32 v3, 3, v3
	s_wait_dscnt 0x0
	v_add_lshl_u32 v4, v3, v5, 2
	ds_bpermute_b32 v3, v4, v1
	ds_bpermute_b32 v4, v4, v2
	v_cmpx_lt_u32_e64 v7, v6
	s_cbranch_execz .LBB8_17
; %bb.16:
	s_wait_dscnt 0x0
	v_add_f64_e32 v[1:2], v[1:2], v[3:4]
.LBB8_17:
	s_wait_alu 0xfffe
	s_or_b32 exec_lo, exec_lo, s1
	v_cmp_gt_u32_e32 vcc_lo, 16, v5
	v_add_nc_u32_e32 v7, 16, v5
	s_mov_b32 s1, exec_lo
	s_wait_dscnt 0x1
	s_wait_alu 0xfffd
	v_cndmask_b32_e64 v3, 0, 1, vcc_lo
	s_delay_alu instid0(VALU_DEP_1) | instskip(SKIP_1) | instid1(VALU_DEP_1)
	v_lshlrev_b32_e32 v3, 4, v3
	s_wait_dscnt 0x0
	v_add_lshl_u32 v4, v3, v5, 2
	ds_bpermute_b32 v3, v4, v1
	ds_bpermute_b32 v4, v4, v2
	v_cmpx_lt_u32_e64 v7, v6
	s_cbranch_execz .LBB8_19
; %bb.18:
	s_wait_dscnt 0x0
	v_add_f64_e32 v[1:2], v[1:2], v[3:4]
.LBB8_19:
	s_wait_alu 0xfffe
	s_or_b32 exec_lo, exec_lo, s1
	s_delay_alu instid0(SALU_CYCLE_1)
	s_mov_b32 s1, exec_lo
	v_cmpx_eq_u32_e32 0, v5
	s_cbranch_execz .LBB8_21
; %bb.20:
	s_wait_dscnt 0x1
	v_lshrrev_b32_e32 v3, 2, v0
	s_delay_alu instid0(VALU_DEP_1)
	v_and_b32_e32 v3, 56, v3
	ds_store_b64 v3, v[1:2] offset:64
.LBB8_21:
	s_wait_alu 0xfffe
	s_or_b32 exec_lo, exec_lo, s1
	s_delay_alu instid0(SALU_CYCLE_1)
	s_mov_b32 s1, exec_lo
	global_wb scope:SCOPE_SE
	s_wait_dscnt 0x0
	s_barrier_signal -1
	s_barrier_wait -1
	global_inv scope:SCOPE_SE
	v_cmpx_gt_u32_e32 8, v0
	s_cbranch_execz .LBB8_29
; %bb.22:
	v_lshlrev_b32_e32 v1, 3, v5
	v_and_b32_e32 v6, 7, v5
	s_add_co_i32 s0, s0, 31
	s_mov_b32 s10, exec_lo
	s_wait_alu 0xfffe
	s_lshr_b32 s0, s0, 5
	ds_load_b64 v[1:2], v1 offset:64
	v_cmp_ne_u32_e32 vcc_lo, 7, v6
	v_add_nc_u32_e32 v7, 1, v6
	s_wait_alu 0xfffd
	v_add_co_ci_u32_e32 v3, vcc_lo, 0, v5, vcc_lo
	s_delay_alu instid0(VALU_DEP_1)
	v_lshlrev_b32_e32 v4, 2, v3
	s_wait_dscnt 0x0
	ds_bpermute_b32 v3, v4, v1
	ds_bpermute_b32 v4, v4, v2
	s_wait_alu 0xfffe
	v_cmpx_gt_u32_e64 s0, v7
	s_cbranch_execz .LBB8_24
; %bb.23:
	s_wait_dscnt 0x0
	v_add_f64_e32 v[1:2], v[1:2], v[3:4]
.LBB8_24:
	s_or_b32 exec_lo, exec_lo, s10
	v_cmp_gt_u32_e32 vcc_lo, 6, v6
	v_add_nc_u32_e32 v7, 2, v6
	s_mov_b32 s10, exec_lo
	s_wait_dscnt 0x1
	s_wait_alu 0xfffd
	v_cndmask_b32_e64 v3, 0, 1, vcc_lo
	s_delay_alu instid0(VALU_DEP_1) | instskip(SKIP_1) | instid1(VALU_DEP_1)
	v_lshlrev_b32_e32 v3, 1, v3
	s_wait_dscnt 0x0
	v_add_lshl_u32 v4, v3, v5, 2
	ds_bpermute_b32 v3, v4, v1
	ds_bpermute_b32 v4, v4, v2
	v_cmpx_gt_u32_e64 s0, v7
	s_cbranch_execz .LBB8_26
; %bb.25:
	s_wait_dscnt 0x0
	v_add_f64_e32 v[1:2], v[1:2], v[3:4]
.LBB8_26:
	s_or_b32 exec_lo, exec_lo, s10
	v_cmp_gt_u32_e32 vcc_lo, 4, v6
	s_wait_dscnt 0x1
	s_wait_alu 0xfffd
	v_cndmask_b32_e64 v3, 0, 1, vcc_lo
	s_delay_alu instid0(VALU_DEP_1) | instskip(SKIP_1) | instid1(VALU_DEP_1)
	v_lshlrev_b32_e32 v3, 2, v3
	s_wait_dscnt 0x0
	v_add_lshl_u32 v4, v3, v5, 2
	v_add_nc_u32_e32 v5, 4, v6
	ds_bpermute_b32 v3, v4, v1
	ds_bpermute_b32 v4, v4, v2
	v_cmp_gt_u32_e32 vcc_lo, s0, v5
	s_and_saveexec_b32 s0, vcc_lo
	s_cbranch_execz .LBB8_28
; %bb.27:
	s_wait_dscnt 0x0
	v_add_f64_e32 v[1:2], v[1:2], v[3:4]
.LBB8_28:
	s_wait_alu 0xfffe
	s_or_b32 exec_lo, exec_lo, s0
.LBB8_29:
	s_wait_alu 0xfffe
	s_or_b32 exec_lo, exec_lo, s1
.LBB8_30:
	s_delay_alu instid0(SALU_CYCLE_1)
	s_mov_b32 s0, exec_lo
	v_cmpx_eq_u32_e32 0, v0
	s_cbranch_execz .LBB8_32
; %bb.31:
	s_delay_alu instid0(VALU_DEP_2)
	v_add_f64_e32 v[0:1], s[6:7], v[1:2]
	s_lshl_b64 s[0:1], s[8:9], 3
	s_cmp_eq_u64 s[2:3], 0
	v_mov_b32_e32 v2, 0
	s_cselect_b32 s2, -1, 0
	s_wait_alu 0xfffe
	s_add_nc_u64 s[0:1], s[4:5], s[0:1]
	s_delay_alu instid0(VALU_DEP_2) | instskip(NEXT) | instid1(VALU_DEP_3)
	v_cndmask_b32_e64 v1, v1, s7, s2
	v_cndmask_b32_e64 v0, v0, s6, s2
	global_store_b64 v2, v[0:1], s[0:1]
.LBB8_32:
	s_nop 0
	s_sendmsg sendmsg(MSG_DEALLOC_VGPRS)
	s_endpgm
	.section	.rodata,"a",@progbits
	.p2align	6, 0x0
	.amdhsa_kernel _ZN7rocprim6detail19block_reduce_kernelILb1ELb0ELj16ENS0_21wrapped_reduce_configINS_14default_configEdEEdPdS5_dN6thrust4plusIdEEEEvT4_mT5_T6_T7_
		.amdhsa_group_segment_fixed_size 128
		.amdhsa_private_segment_fixed_size 0
		.amdhsa_kernarg_size 36
		.amdhsa_user_sgpr_count 2
		.amdhsa_user_sgpr_dispatch_ptr 0
		.amdhsa_user_sgpr_queue_ptr 0
		.amdhsa_user_sgpr_kernarg_segment_ptr 1
		.amdhsa_user_sgpr_dispatch_id 0
		.amdhsa_user_sgpr_private_segment_size 0
		.amdhsa_wavefront_size32 1
		.amdhsa_uses_dynamic_stack 0
		.amdhsa_enable_private_segment 0
		.amdhsa_system_sgpr_workgroup_id_x 1
		.amdhsa_system_sgpr_workgroup_id_y 0
		.amdhsa_system_sgpr_workgroup_id_z 0
		.amdhsa_system_sgpr_workgroup_info 0
		.amdhsa_system_vgpr_workitem_id 0
		.amdhsa_next_free_vgpr 8
		.amdhsa_next_free_sgpr 14
		.amdhsa_reserve_vcc 1
		.amdhsa_float_round_mode_32 0
		.amdhsa_float_round_mode_16_64 0
		.amdhsa_float_denorm_mode_32 3
		.amdhsa_float_denorm_mode_16_64 3
		.amdhsa_fp16_overflow 0
		.amdhsa_workgroup_processor_mode 1
		.amdhsa_memory_ordered 1
		.amdhsa_forward_progress 0
		.amdhsa_round_robin_scheduling 0
		.amdhsa_exception_fp_ieee_invalid_op 0
		.amdhsa_exception_fp_denorm_src 0
		.amdhsa_exception_fp_ieee_div_zero 0
		.amdhsa_exception_fp_ieee_overflow 0
		.amdhsa_exception_fp_ieee_underflow 0
		.amdhsa_exception_fp_ieee_inexact 0
		.amdhsa_exception_int_div_zero 0
	.end_amdhsa_kernel
	.section	.text._ZN7rocprim6detail19block_reduce_kernelILb1ELb0ELj16ENS0_21wrapped_reduce_configINS_14default_configEdEEdPdS5_dN6thrust4plusIdEEEEvT4_mT5_T6_T7_,"axG",@progbits,_ZN7rocprim6detail19block_reduce_kernelILb1ELb0ELj16ENS0_21wrapped_reduce_configINS_14default_configEdEEdPdS5_dN6thrust4plusIdEEEEvT4_mT5_T6_T7_,comdat
.Lfunc_end8:
	.size	_ZN7rocprim6detail19block_reduce_kernelILb1ELb0ELj16ENS0_21wrapped_reduce_configINS_14default_configEdEEdPdS5_dN6thrust4plusIdEEEEvT4_mT5_T6_T7_, .Lfunc_end8-_ZN7rocprim6detail19block_reduce_kernelILb1ELb0ELj16ENS0_21wrapped_reduce_configINS_14default_configEdEEdPdS5_dN6thrust4plusIdEEEEvT4_mT5_T6_T7_
                                        ; -- End function
	.section	.AMDGPU.csdata,"",@progbits
; Kernel info:
; codeLenInByte = 1496
; NumSgprs: 16
; NumVgprs: 8
; ScratchSize: 0
; MemoryBound: 0
; FloatMode: 240
; IeeeMode: 1
; LDSByteSize: 128 bytes/workgroup (compile time only)
; SGPRBlocks: 1
; VGPRBlocks: 0
; NumSGPRsForWavesPerEU: 16
; NumVGPRsForWavesPerEU: 8
; Occupancy: 16
; WaveLimiterHint : 0
; COMPUTE_PGM_RSRC2:SCRATCH_EN: 0
; COMPUTE_PGM_RSRC2:USER_SGPR: 2
; COMPUTE_PGM_RSRC2:TRAP_HANDLER: 0
; COMPUTE_PGM_RSRC2:TGID_X_EN: 1
; COMPUTE_PGM_RSRC2:TGID_Y_EN: 0
; COMPUTE_PGM_RSRC2:TGID_Z_EN: 0
; COMPUTE_PGM_RSRC2:TIDIG_COMP_CNT: 0
	.section	.text._ZN7rocprim6detail19block_reduce_kernelILb1ELb0ELj8ENS0_21wrapped_reduce_configINS_14default_configEdEEdPdS5_dN6thrust4plusIdEEEEvT4_mT5_T6_T7_,"axG",@progbits,_ZN7rocprim6detail19block_reduce_kernelILb1ELb0ELj8ENS0_21wrapped_reduce_configINS_14default_configEdEEdPdS5_dN6thrust4plusIdEEEEvT4_mT5_T6_T7_,comdat
	.protected	_ZN7rocprim6detail19block_reduce_kernelILb1ELb0ELj8ENS0_21wrapped_reduce_configINS_14default_configEdEEdPdS5_dN6thrust4plusIdEEEEvT4_mT5_T6_T7_ ; -- Begin function _ZN7rocprim6detail19block_reduce_kernelILb1ELb0ELj8ENS0_21wrapped_reduce_configINS_14default_configEdEEdPdS5_dN6thrust4plusIdEEEEvT4_mT5_T6_T7_
	.globl	_ZN7rocprim6detail19block_reduce_kernelILb1ELb0ELj8ENS0_21wrapped_reduce_configINS_14default_configEdEEdPdS5_dN6thrust4plusIdEEEEvT4_mT5_T6_T7_
	.p2align	8
	.type	_ZN7rocprim6detail19block_reduce_kernelILb1ELb0ELj8ENS0_21wrapped_reduce_configINS_14default_configEdEEdPdS5_dN6thrust4plusIdEEEEvT4_mT5_T6_T7_,@function
_ZN7rocprim6detail19block_reduce_kernelILb1ELb0ELj8ENS0_21wrapped_reduce_configINS_14default_configEdEEdPdS5_dN6thrust4plusIdEEEEvT4_mT5_T6_T7_: ; @_ZN7rocprim6detail19block_reduce_kernelILb1ELb0ELj8ENS0_21wrapped_reduce_configINS_14default_configEdEEdPdS5_dN6thrust4plusIdEEEEvT4_mT5_T6_T7_
; %bb.0:
	s_load_b256 s[0:7], s[0:1], 0x0
	s_mov_b32 s11, 0
	s_lshl_b32 s10, ttmp9, 9
	v_lshlrev_b32_e32 v1, 3, v0
	s_lshl_b64 s[12:13], s[10:11], 3
	v_mbcnt_lo_u32_b32 v7, -1, 0
	s_mov_b32 s8, ttmp9
	s_mov_b32 s9, s11
	s_wait_kmcnt 0x0
	s_add_nc_u64 s[0:1], s[0:1], s[12:13]
	s_lshr_b64 s[14:15], s[2:3], 9
	v_add_co_u32 v5, s0, s0, v1
	s_wait_alu 0xf1ff
	v_add_co_ci_u32_e64 v6, null, s1, 0, s0
	s_cmp_lg_u64 s[14:15], s[8:9]
	s_cbranch_scc0 .LBB9_6
; %bb.1:
	s_clause 0x1
	global_load_b64 v[1:2], v[5:6], off
	global_load_b64 v[3:4], v[5:6], off offset:2048
	s_mov_b32 s0, exec_lo
	s_wait_loadcnt 0x0
	v_add_f64_e32 v[1:2], v[1:2], v[3:4]
	s_delay_alu instid0(VALU_DEP_1) | instskip(NEXT) | instid1(VALU_DEP_2)
	v_mov_b32_dpp v3, v1 quad_perm:[1,0,3,2] row_mask:0xf bank_mask:0xf
	v_mov_b32_dpp v4, v2 quad_perm:[1,0,3,2] row_mask:0xf bank_mask:0xf
	s_delay_alu instid0(VALU_DEP_1) | instskip(NEXT) | instid1(VALU_DEP_1)
	v_add_f64_e32 v[1:2], v[1:2], v[3:4]
	v_mov_b32_dpp v3, v1 quad_perm:[2,3,0,1] row_mask:0xf bank_mask:0xf
	s_delay_alu instid0(VALU_DEP_2) | instskip(NEXT) | instid1(VALU_DEP_1)
	v_mov_b32_dpp v4, v2 quad_perm:[2,3,0,1] row_mask:0xf bank_mask:0xf
	v_add_f64_e32 v[1:2], v[1:2], v[3:4]
	s_delay_alu instid0(VALU_DEP_1) | instskip(NEXT) | instid1(VALU_DEP_2)
	v_mov_b32_dpp v3, v1 row_ror:4 row_mask:0xf bank_mask:0xf
	v_mov_b32_dpp v4, v2 row_ror:4 row_mask:0xf bank_mask:0xf
	s_delay_alu instid0(VALU_DEP_1) | instskip(NEXT) | instid1(VALU_DEP_1)
	v_add_f64_e32 v[1:2], v[1:2], v[3:4]
	v_mov_b32_dpp v3, v1 row_ror:8 row_mask:0xf bank_mask:0xf
	s_delay_alu instid0(VALU_DEP_2) | instskip(NEXT) | instid1(VALU_DEP_1)
	v_mov_b32_dpp v4, v2 row_ror:8 row_mask:0xf bank_mask:0xf
	v_add_f64_e32 v[1:2], v[1:2], v[3:4]
	ds_swizzle_b32 v3, v1 offset:swizzle(BROADCAST,32,15)
	ds_swizzle_b32 v4, v2 offset:swizzle(BROADCAST,32,15)
	s_wait_dscnt 0x0
	v_add_f64_e32 v[1:2], v[1:2], v[3:4]
	v_mov_b32_e32 v3, 0
	ds_bpermute_b32 v1, v3, v1 offset:124
	ds_bpermute_b32 v2, v3, v2 offset:124
	v_cmpx_eq_u32_e32 0, v7
	s_cbranch_execz .LBB9_3
; %bb.2:
	v_lshrrev_b32_e32 v3, 2, v0
	s_delay_alu instid0(VALU_DEP_1)
	v_and_b32_e32 v3, 56, v3
	s_wait_dscnt 0x0
	ds_store_b64 v3, v[1:2]
.LBB9_3:
	s_wait_alu 0xfffe
	s_or_b32 exec_lo, exec_lo, s0
	s_delay_alu instid0(SALU_CYCLE_1)
	s_mov_b32 s0, exec_lo
	global_wb scope:SCOPE_SE
	s_wait_dscnt 0x0
	s_barrier_signal -1
	s_barrier_wait -1
	global_inv scope:SCOPE_SE
	v_cmpx_gt_u32_e32 32, v0
	s_cbranch_execz .LBB9_5
; %bb.4:
	v_and_b32_e32 v8, 7, v7
	s_delay_alu instid0(VALU_DEP_1) | instskip(SKIP_4) | instid1(VALU_DEP_2)
	v_lshlrev_b32_e32 v1, 3, v8
	v_cmp_ne_u32_e32 vcc_lo, 7, v8
	ds_load_b64 v[1:2], v1
	v_add_co_ci_u32_e32 v3, vcc_lo, 0, v7, vcc_lo
	v_cmp_gt_u32_e32 vcc_lo, 6, v8
	v_lshlrev_b32_e32 v4, 2, v3
	s_wait_dscnt 0x0
	ds_bpermute_b32 v3, v4, v1
	ds_bpermute_b32 v4, v4, v2
	s_wait_dscnt 0x0
	v_add_f64_e32 v[1:2], v[1:2], v[3:4]
	s_wait_alu 0xfffd
	v_cndmask_b32_e64 v3, 0, 1, vcc_lo
	v_cmp_gt_u32_e32 vcc_lo, 4, v8
	s_delay_alu instid0(VALU_DEP_2) | instskip(NEXT) | instid1(VALU_DEP_1)
	v_lshlrev_b32_e32 v3, 1, v3
	v_add_lshl_u32 v4, v3, v7, 2
	ds_bpermute_b32 v3, v4, v1
	ds_bpermute_b32 v4, v4, v2
	s_wait_dscnt 0x0
	v_add_f64_e32 v[1:2], v[1:2], v[3:4]
	s_wait_alu 0xfffd
	v_cndmask_b32_e64 v3, 0, 1, vcc_lo
	s_delay_alu instid0(VALU_DEP_1) | instskip(NEXT) | instid1(VALU_DEP_1)
	v_lshlrev_b32_e32 v3, 2, v3
	v_add_lshl_u32 v4, v3, v7, 2
	ds_bpermute_b32 v3, v4, v1
	ds_bpermute_b32 v4, v4, v2
	s_wait_dscnt 0x0
	v_add_f64_e32 v[1:2], v[1:2], v[3:4]
.LBB9_5:
	s_wait_alu 0xfffe
	s_or_b32 exec_lo, exec_lo, s0
	s_branch .LBB9_32
.LBB9_6:
                                        ; implicit-def: $vgpr1_vgpr2
	s_cbranch_execz .LBB9_32
; %bb.7:
	s_sub_co_i32 s1, s2, s10
	s_mov_b32 s0, exec_lo
                                        ; implicit-def: $vgpr1_vgpr2_vgpr3_vgpr4
	s_wait_alu 0xfffe
	v_cmpx_gt_u32_e64 s1, v0
	s_cbranch_execz .LBB9_9
; %bb.8:
	global_load_b64 v[1:2], v[5:6], off
.LBB9_9:
	s_or_b32 exec_lo, exec_lo, s0
	v_or_b32_e32 v8, 0x100, v0
	s_delay_alu instid0(VALU_DEP_1)
	v_cmp_gt_u32_e32 vcc_lo, s1, v8
	s_and_saveexec_b32 s0, vcc_lo
	s_cbranch_execz .LBB9_11
; %bb.10:
	global_load_b64 v[3:4], v[5:6], off offset:2048
.LBB9_11:
	s_wait_alu 0xfffe
	s_or_b32 exec_lo, exec_lo, s0
	s_wait_loadcnt 0x0
	v_add_f64_e32 v[3:4], v[1:2], v[3:4]
	v_cmp_ne_u32_e64 s0, 31, v7
	v_add_nc_u32_e32 v6, 1, v7
	s_wait_alu 0xf1ff
	s_delay_alu instid0(VALU_DEP_2) | instskip(SKIP_2) | instid1(VALU_DEP_1)
	v_add_co_ci_u32_e64 v5, s0, 0, v7, s0
	s_min_u32 s0, s1, 0x100
	s_mov_b32 s1, exec_lo
	v_dual_cndmask_b32 v2, v2, v4 :: v_dual_lshlrev_b32 v5, 2, v5
	v_cndmask_b32_e32 v1, v1, v3, vcc_lo
	ds_bpermute_b32 v4, v5, v2
	ds_bpermute_b32 v3, v5, v1
	v_and_b32_e32 v5, 0xe0, v0
	s_wait_alu 0xfffe
	s_delay_alu instid0(VALU_DEP_1) | instskip(NEXT) | instid1(VALU_DEP_1)
	v_sub_nc_u32_e64 v5, s0, v5 clamp
	v_cmpx_lt_u32_e64 v6, v5
	s_cbranch_execz .LBB9_13
; %bb.12:
	s_wait_dscnt 0x0
	v_add_f64_e32 v[1:2], v[1:2], v[3:4]
.LBB9_13:
	s_or_b32 exec_lo, exec_lo, s1
	v_cmp_gt_u32_e32 vcc_lo, 30, v7
	v_add_nc_u32_e32 v6, 2, v7
	s_mov_b32 s1, exec_lo
	s_wait_dscnt 0x0
	s_wait_alu 0xfffd
	v_cndmask_b32_e64 v3, 0, 1, vcc_lo
	s_delay_alu instid0(VALU_DEP_1) | instskip(NEXT) | instid1(VALU_DEP_1)
	v_lshlrev_b32_e32 v3, 1, v3
	v_add_lshl_u32 v4, v3, v7, 2
	ds_bpermute_b32 v3, v4, v1
	ds_bpermute_b32 v4, v4, v2
	v_cmpx_lt_u32_e64 v6, v5
	s_cbranch_execz .LBB9_15
; %bb.14:
	s_wait_dscnt 0x0
	v_add_f64_e32 v[1:2], v[1:2], v[3:4]
.LBB9_15:
	s_wait_alu 0xfffe
	s_or_b32 exec_lo, exec_lo, s1
	v_cmp_gt_u32_e32 vcc_lo, 28, v7
	v_add_nc_u32_e32 v6, 4, v7
	s_mov_b32 s1, exec_lo
	s_wait_dscnt 0x1
	s_wait_alu 0xfffd
	v_cndmask_b32_e64 v3, 0, 1, vcc_lo
	s_delay_alu instid0(VALU_DEP_1) | instskip(SKIP_1) | instid1(VALU_DEP_1)
	v_lshlrev_b32_e32 v3, 2, v3
	s_wait_dscnt 0x0
	v_add_lshl_u32 v4, v3, v7, 2
	ds_bpermute_b32 v3, v4, v1
	ds_bpermute_b32 v4, v4, v2
	v_cmpx_lt_u32_e64 v6, v5
	s_cbranch_execz .LBB9_17
; %bb.16:
	s_wait_dscnt 0x0
	v_add_f64_e32 v[1:2], v[1:2], v[3:4]
.LBB9_17:
	s_wait_alu 0xfffe
	s_or_b32 exec_lo, exec_lo, s1
	v_cmp_gt_u32_e32 vcc_lo, 24, v7
	v_add_nc_u32_e32 v6, 8, v7
	s_mov_b32 s1, exec_lo
	s_wait_dscnt 0x1
	s_wait_alu 0xfffd
	v_cndmask_b32_e64 v3, 0, 1, vcc_lo
	s_delay_alu instid0(VALU_DEP_1) | instskip(SKIP_1) | instid1(VALU_DEP_1)
	v_lshlrev_b32_e32 v3, 3, v3
	s_wait_dscnt 0x0
	;; [unrolled: 20-line block ×3, first 2 shown]
	v_add_lshl_u32 v4, v3, v7, 2
	ds_bpermute_b32 v3, v4, v1
	ds_bpermute_b32 v4, v4, v2
	v_cmpx_lt_u32_e64 v6, v5
	s_cbranch_execz .LBB9_21
; %bb.20:
	s_wait_dscnt 0x0
	v_add_f64_e32 v[1:2], v[1:2], v[3:4]
.LBB9_21:
	s_wait_alu 0xfffe
	s_or_b32 exec_lo, exec_lo, s1
	s_delay_alu instid0(SALU_CYCLE_1)
	s_mov_b32 s1, exec_lo
	v_cmpx_eq_u32_e32 0, v7
	s_cbranch_execz .LBB9_23
; %bb.22:
	s_wait_dscnt 0x1
	v_lshrrev_b32_e32 v3, 2, v0
	s_delay_alu instid0(VALU_DEP_1)
	v_and_b32_e32 v3, 56, v3
	ds_store_b64 v3, v[1:2] offset:64
.LBB9_23:
	s_wait_alu 0xfffe
	s_or_b32 exec_lo, exec_lo, s1
	s_delay_alu instid0(SALU_CYCLE_1)
	s_mov_b32 s1, exec_lo
	global_wb scope:SCOPE_SE
	s_wait_dscnt 0x0
	s_barrier_signal -1
	s_barrier_wait -1
	global_inv scope:SCOPE_SE
	v_cmpx_gt_u32_e32 8, v0
	s_cbranch_execz .LBB9_31
; %bb.24:
	v_lshlrev_b32_e32 v1, 3, v7
	v_and_b32_e32 v5, 7, v7
	s_add_co_i32 s0, s0, 31
	s_mov_b32 s10, exec_lo
	s_wait_alu 0xfffe
	s_lshr_b32 s0, s0, 5
	ds_load_b64 v[1:2], v1 offset:64
	v_cmp_ne_u32_e32 vcc_lo, 7, v5
	v_add_nc_u32_e32 v6, 1, v5
	s_wait_alu 0xfffd
	v_add_co_ci_u32_e32 v3, vcc_lo, 0, v7, vcc_lo
	s_delay_alu instid0(VALU_DEP_1)
	v_lshlrev_b32_e32 v4, 2, v3
	s_wait_dscnt 0x0
	ds_bpermute_b32 v3, v4, v1
	ds_bpermute_b32 v4, v4, v2
	s_wait_alu 0xfffe
	v_cmpx_gt_u32_e64 s0, v6
	s_cbranch_execz .LBB9_26
; %bb.25:
	s_wait_dscnt 0x0
	v_add_f64_e32 v[1:2], v[1:2], v[3:4]
.LBB9_26:
	s_or_b32 exec_lo, exec_lo, s10
	v_cmp_gt_u32_e32 vcc_lo, 6, v5
	v_add_nc_u32_e32 v6, 2, v5
	s_mov_b32 s10, exec_lo
	s_wait_dscnt 0x1
	s_wait_alu 0xfffd
	v_cndmask_b32_e64 v3, 0, 1, vcc_lo
	s_delay_alu instid0(VALU_DEP_1) | instskip(SKIP_1) | instid1(VALU_DEP_1)
	v_lshlrev_b32_e32 v3, 1, v3
	s_wait_dscnt 0x0
	v_add_lshl_u32 v4, v3, v7, 2
	ds_bpermute_b32 v3, v4, v1
	ds_bpermute_b32 v4, v4, v2
	v_cmpx_gt_u32_e64 s0, v6
	s_cbranch_execz .LBB9_28
; %bb.27:
	s_wait_dscnt 0x0
	v_add_f64_e32 v[1:2], v[1:2], v[3:4]
.LBB9_28:
	s_or_b32 exec_lo, exec_lo, s10
	v_cmp_gt_u32_e32 vcc_lo, 4, v5
	v_add_nc_u32_e32 v5, 4, v5
	s_wait_dscnt 0x1
	s_wait_alu 0xfffd
	v_cndmask_b32_e64 v3, 0, 1, vcc_lo
	s_delay_alu instid0(VALU_DEP_2) | instskip(NEXT) | instid1(VALU_DEP_2)
	v_cmp_gt_u32_e32 vcc_lo, s0, v5
	v_lshlrev_b32_e32 v3, 2, v3
	s_wait_dscnt 0x0
	s_delay_alu instid0(VALU_DEP_1)
	v_add_lshl_u32 v4, v3, v7, 2
	ds_bpermute_b32 v3, v4, v1
	ds_bpermute_b32 v4, v4, v2
	s_and_saveexec_b32 s0, vcc_lo
	s_cbranch_execz .LBB9_30
; %bb.29:
	s_wait_dscnt 0x0
	v_add_f64_e32 v[1:2], v[1:2], v[3:4]
.LBB9_30:
	s_wait_alu 0xfffe
	s_or_b32 exec_lo, exec_lo, s0
.LBB9_31:
	s_wait_alu 0xfffe
	s_or_b32 exec_lo, exec_lo, s1
.LBB9_32:
	s_delay_alu instid0(SALU_CYCLE_1)
	s_mov_b32 s0, exec_lo
	v_cmpx_eq_u32_e32 0, v0
	s_cbranch_execz .LBB9_34
; %bb.33:
	s_delay_alu instid0(VALU_DEP_2)
	v_add_f64_e32 v[0:1], s[6:7], v[1:2]
	s_lshl_b64 s[0:1], s[8:9], 3
	s_cmp_eq_u64 s[2:3], 0
	v_mov_b32_e32 v2, 0
	s_cselect_b32 s2, -1, 0
	s_wait_alu 0xfffe
	s_add_nc_u64 s[0:1], s[4:5], s[0:1]
	s_delay_alu instid0(VALU_DEP_2) | instskip(NEXT) | instid1(VALU_DEP_3)
	v_cndmask_b32_e64 v1, v1, s7, s2
	v_cndmask_b32_e64 v0, v0, s6, s2
	global_store_b64 v2, v[0:1], s[0:1]
.LBB9_34:
	s_nop 0
	s_sendmsg sendmsg(MSG_DEALLOC_VGPRS)
	s_endpgm
	.section	.rodata,"a",@progbits
	.p2align	6, 0x0
	.amdhsa_kernel _ZN7rocprim6detail19block_reduce_kernelILb1ELb0ELj8ENS0_21wrapped_reduce_configINS_14default_configEdEEdPdS5_dN6thrust4plusIdEEEEvT4_mT5_T6_T7_
		.amdhsa_group_segment_fixed_size 128
		.amdhsa_private_segment_fixed_size 0
		.amdhsa_kernarg_size 36
		.amdhsa_user_sgpr_count 2
		.amdhsa_user_sgpr_dispatch_ptr 0
		.amdhsa_user_sgpr_queue_ptr 0
		.amdhsa_user_sgpr_kernarg_segment_ptr 1
		.amdhsa_user_sgpr_dispatch_id 0
		.amdhsa_user_sgpr_private_segment_size 0
		.amdhsa_wavefront_size32 1
		.amdhsa_uses_dynamic_stack 0
		.amdhsa_enable_private_segment 0
		.amdhsa_system_sgpr_workgroup_id_x 1
		.amdhsa_system_sgpr_workgroup_id_y 0
		.amdhsa_system_sgpr_workgroup_id_z 0
		.amdhsa_system_sgpr_workgroup_info 0
		.amdhsa_system_vgpr_workitem_id 0
		.amdhsa_next_free_vgpr 9
		.amdhsa_next_free_sgpr 16
		.amdhsa_reserve_vcc 1
		.amdhsa_float_round_mode_32 0
		.amdhsa_float_round_mode_16_64 0
		.amdhsa_float_denorm_mode_32 3
		.amdhsa_float_denorm_mode_16_64 3
		.amdhsa_fp16_overflow 0
		.amdhsa_workgroup_processor_mode 1
		.amdhsa_memory_ordered 1
		.amdhsa_forward_progress 0
		.amdhsa_round_robin_scheduling 0
		.amdhsa_exception_fp_ieee_invalid_op 0
		.amdhsa_exception_fp_denorm_src 0
		.amdhsa_exception_fp_ieee_div_zero 0
		.amdhsa_exception_fp_ieee_overflow 0
		.amdhsa_exception_fp_ieee_underflow 0
		.amdhsa_exception_fp_ieee_inexact 0
		.amdhsa_exception_int_div_zero 0
	.end_amdhsa_kernel
	.section	.text._ZN7rocprim6detail19block_reduce_kernelILb1ELb0ELj8ENS0_21wrapped_reduce_configINS_14default_configEdEEdPdS5_dN6thrust4plusIdEEEEvT4_mT5_T6_T7_,"axG",@progbits,_ZN7rocprim6detail19block_reduce_kernelILb1ELb0ELj8ENS0_21wrapped_reduce_configINS_14default_configEdEEdPdS5_dN6thrust4plusIdEEEEvT4_mT5_T6_T7_,comdat
.Lfunc_end9:
	.size	_ZN7rocprim6detail19block_reduce_kernelILb1ELb0ELj8ENS0_21wrapped_reduce_configINS_14default_configEdEEdPdS5_dN6thrust4plusIdEEEEvT4_mT5_T6_T7_, .Lfunc_end9-_ZN7rocprim6detail19block_reduce_kernelILb1ELb0ELj8ENS0_21wrapped_reduce_configINS_14default_configEdEEdPdS5_dN6thrust4plusIdEEEEvT4_mT5_T6_T7_
                                        ; -- End function
	.section	.AMDGPU.csdata,"",@progbits
; Kernel info:
; codeLenInByte = 1604
; NumSgprs: 18
; NumVgprs: 9
; ScratchSize: 0
; MemoryBound: 1
; FloatMode: 240
; IeeeMode: 1
; LDSByteSize: 128 bytes/workgroup (compile time only)
; SGPRBlocks: 2
; VGPRBlocks: 1
; NumSGPRsForWavesPerEU: 18
; NumVGPRsForWavesPerEU: 9
; Occupancy: 16
; WaveLimiterHint : 1
; COMPUTE_PGM_RSRC2:SCRATCH_EN: 0
; COMPUTE_PGM_RSRC2:USER_SGPR: 2
; COMPUTE_PGM_RSRC2:TRAP_HANDLER: 0
; COMPUTE_PGM_RSRC2:TGID_X_EN: 1
; COMPUTE_PGM_RSRC2:TGID_Y_EN: 0
; COMPUTE_PGM_RSRC2:TGID_Z_EN: 0
; COMPUTE_PGM_RSRC2:TIDIG_COMP_CNT: 0
	.section	.text._ZN7rocprim6detail19block_reduce_kernelILb1ELb0ELj4ENS0_21wrapped_reduce_configINS_14default_configEdEEdPdS5_dN6thrust4plusIdEEEEvT4_mT5_T6_T7_,"axG",@progbits,_ZN7rocprim6detail19block_reduce_kernelILb1ELb0ELj4ENS0_21wrapped_reduce_configINS_14default_configEdEEdPdS5_dN6thrust4plusIdEEEEvT4_mT5_T6_T7_,comdat
	.protected	_ZN7rocprim6detail19block_reduce_kernelILb1ELb0ELj4ENS0_21wrapped_reduce_configINS_14default_configEdEEdPdS5_dN6thrust4plusIdEEEEvT4_mT5_T6_T7_ ; -- Begin function _ZN7rocprim6detail19block_reduce_kernelILb1ELb0ELj4ENS0_21wrapped_reduce_configINS_14default_configEdEEdPdS5_dN6thrust4plusIdEEEEvT4_mT5_T6_T7_
	.globl	_ZN7rocprim6detail19block_reduce_kernelILb1ELb0ELj4ENS0_21wrapped_reduce_configINS_14default_configEdEEdPdS5_dN6thrust4plusIdEEEEvT4_mT5_T6_T7_
	.p2align	8
	.type	_ZN7rocprim6detail19block_reduce_kernelILb1ELb0ELj4ENS0_21wrapped_reduce_configINS_14default_configEdEEdPdS5_dN6thrust4plusIdEEEEvT4_mT5_T6_T7_,@function
_ZN7rocprim6detail19block_reduce_kernelILb1ELb0ELj4ENS0_21wrapped_reduce_configINS_14default_configEdEEdPdS5_dN6thrust4plusIdEEEEvT4_mT5_T6_T7_: ; @_ZN7rocprim6detail19block_reduce_kernelILb1ELb0ELj4ENS0_21wrapped_reduce_configINS_14default_configEdEEdPdS5_dN6thrust4plusIdEEEEvT4_mT5_T6_T7_
; %bb.0:
	s_load_b256 s[0:7], s[0:1], 0x0
	s_mov_b32 s11, 0
	s_lshl_b32 s10, ttmp9, 10
	v_lshlrev_b32_e32 v1, 3, v0
	s_lshl_b64 s[12:13], s[10:11], 3
	v_mbcnt_lo_u32_b32 v11, -1, 0
	s_mov_b32 s8, ttmp9
	s_mov_b32 s9, s11
	s_wait_kmcnt 0x0
	s_add_nc_u64 s[0:1], s[0:1], s[12:13]
	s_lshr_b64 s[14:15], s[2:3], 10
	v_add_co_u32 v9, s0, s0, v1
	s_wait_alu 0xf1ff
	v_add_co_ci_u32_e64 v10, null, s1, 0, s0
	s_cmp_lg_u64 s[14:15], s[8:9]
	s_cbranch_scc0 .LBB10_6
; %bb.1:
	s_clause 0x3
	global_load_b64 v[1:2], v[9:10], off
	global_load_b64 v[3:4], v[9:10], off offset:2048
	global_load_b64 v[5:6], v[9:10], off offset:4096
	;; [unrolled: 1-line block ×3, first 2 shown]
	s_mov_b32 s0, exec_lo
	s_wait_loadcnt 0x2
	v_add_f64_e32 v[1:2], v[1:2], v[3:4]
	s_wait_loadcnt 0x1
	s_delay_alu instid0(VALU_DEP_1) | instskip(SKIP_1) | instid1(VALU_DEP_1)
	v_add_f64_e32 v[1:2], v[1:2], v[5:6]
	s_wait_loadcnt 0x0
	v_add_f64_e32 v[1:2], v[1:2], v[7:8]
	s_delay_alu instid0(VALU_DEP_1) | instskip(NEXT) | instid1(VALU_DEP_2)
	v_mov_b32_dpp v3, v1 quad_perm:[1,0,3,2] row_mask:0xf bank_mask:0xf
	v_mov_b32_dpp v4, v2 quad_perm:[1,0,3,2] row_mask:0xf bank_mask:0xf
	s_delay_alu instid0(VALU_DEP_1) | instskip(NEXT) | instid1(VALU_DEP_1)
	v_add_f64_e32 v[1:2], v[1:2], v[3:4]
	v_mov_b32_dpp v3, v1 quad_perm:[2,3,0,1] row_mask:0xf bank_mask:0xf
	s_delay_alu instid0(VALU_DEP_2) | instskip(NEXT) | instid1(VALU_DEP_1)
	v_mov_b32_dpp v4, v2 quad_perm:[2,3,0,1] row_mask:0xf bank_mask:0xf
	v_add_f64_e32 v[1:2], v[1:2], v[3:4]
	s_delay_alu instid0(VALU_DEP_1) | instskip(NEXT) | instid1(VALU_DEP_2)
	v_mov_b32_dpp v3, v1 row_ror:4 row_mask:0xf bank_mask:0xf
	v_mov_b32_dpp v4, v2 row_ror:4 row_mask:0xf bank_mask:0xf
	s_delay_alu instid0(VALU_DEP_1) | instskip(NEXT) | instid1(VALU_DEP_1)
	v_add_f64_e32 v[1:2], v[1:2], v[3:4]
	v_mov_b32_dpp v3, v1 row_ror:8 row_mask:0xf bank_mask:0xf
	s_delay_alu instid0(VALU_DEP_2) | instskip(NEXT) | instid1(VALU_DEP_1)
	v_mov_b32_dpp v4, v2 row_ror:8 row_mask:0xf bank_mask:0xf
	v_add_f64_e32 v[1:2], v[1:2], v[3:4]
	ds_swizzle_b32 v3, v1 offset:swizzle(BROADCAST,32,15)
	ds_swizzle_b32 v4, v2 offset:swizzle(BROADCAST,32,15)
	s_wait_dscnt 0x0
	v_add_f64_e32 v[1:2], v[1:2], v[3:4]
	v_mov_b32_e32 v3, 0
	ds_bpermute_b32 v1, v3, v1 offset:124
	ds_bpermute_b32 v2, v3, v2 offset:124
	v_cmpx_eq_u32_e32 0, v11
	s_cbranch_execz .LBB10_3
; %bb.2:
	v_lshrrev_b32_e32 v3, 2, v0
	s_delay_alu instid0(VALU_DEP_1)
	v_and_b32_e32 v3, 56, v3
	s_wait_dscnt 0x0
	ds_store_b64 v3, v[1:2]
.LBB10_3:
	s_wait_alu 0xfffe
	s_or_b32 exec_lo, exec_lo, s0
	s_delay_alu instid0(SALU_CYCLE_1)
	s_mov_b32 s0, exec_lo
	global_wb scope:SCOPE_SE
	s_wait_dscnt 0x0
	s_barrier_signal -1
	s_barrier_wait -1
	global_inv scope:SCOPE_SE
	v_cmpx_gt_u32_e32 32, v0
	s_cbranch_execz .LBB10_5
; %bb.4:
	v_and_b32_e32 v5, 7, v11
	s_delay_alu instid0(VALU_DEP_1) | instskip(SKIP_4) | instid1(VALU_DEP_2)
	v_lshlrev_b32_e32 v1, 3, v5
	v_cmp_ne_u32_e32 vcc_lo, 7, v5
	ds_load_b64 v[1:2], v1
	v_add_co_ci_u32_e32 v3, vcc_lo, 0, v11, vcc_lo
	v_cmp_gt_u32_e32 vcc_lo, 6, v5
	v_lshlrev_b32_e32 v4, 2, v3
	s_wait_dscnt 0x0
	ds_bpermute_b32 v3, v4, v1
	ds_bpermute_b32 v4, v4, v2
	s_wait_dscnt 0x0
	v_add_f64_e32 v[1:2], v[1:2], v[3:4]
	s_wait_alu 0xfffd
	v_cndmask_b32_e64 v3, 0, 1, vcc_lo
	v_cmp_gt_u32_e32 vcc_lo, 4, v5
	s_delay_alu instid0(VALU_DEP_2) | instskip(NEXT) | instid1(VALU_DEP_1)
	v_lshlrev_b32_e32 v3, 1, v3
	v_add_lshl_u32 v4, v3, v11, 2
	ds_bpermute_b32 v3, v4, v1
	ds_bpermute_b32 v4, v4, v2
	s_wait_dscnt 0x0
	v_add_f64_e32 v[1:2], v[1:2], v[3:4]
	s_wait_alu 0xfffd
	v_cndmask_b32_e64 v3, 0, 1, vcc_lo
	s_delay_alu instid0(VALU_DEP_1) | instskip(NEXT) | instid1(VALU_DEP_1)
	v_lshlrev_b32_e32 v3, 2, v3
	v_add_lshl_u32 v4, v3, v11, 2
	ds_bpermute_b32 v3, v4, v1
	ds_bpermute_b32 v4, v4, v2
	s_wait_dscnt 0x0
	v_add_f64_e32 v[1:2], v[1:2], v[3:4]
.LBB10_5:
	s_wait_alu 0xfffe
	s_or_b32 exec_lo, exec_lo, s0
	s_branch .LBB10_36
.LBB10_6:
                                        ; implicit-def: $vgpr1_vgpr2
	s_cbranch_execz .LBB10_36
; %bb.7:
	s_sub_co_i32 s10, s2, s10
	s_mov_b32 s0, exec_lo
                                        ; implicit-def: $vgpr1_vgpr2_vgpr3_vgpr4_vgpr5_vgpr6_vgpr7_vgpr8
	v_cmpx_gt_u32_e64 s10, v0
	s_cbranch_execz .LBB10_9
; %bb.8:
	global_load_b64 v[1:2], v[9:10], off
.LBB10_9:
	s_wait_alu 0xfffe
	s_or_b32 exec_lo, exec_lo, s0
	v_or_b32_e32 v12, 0x100, v0
	s_delay_alu instid0(VALU_DEP_1)
	v_cmp_gt_u32_e32 vcc_lo, s10, v12
	s_and_saveexec_b32 s0, vcc_lo
	s_cbranch_execz .LBB10_11
; %bb.10:
	global_load_b64 v[3:4], v[9:10], off offset:2048
.LBB10_11:
	s_wait_alu 0xfffe
	s_or_b32 exec_lo, exec_lo, s0
	v_or_b32_e32 v12, 0x200, v0
	s_delay_alu instid0(VALU_DEP_1) | instskip(NEXT) | instid1(VALU_DEP_1)
	v_cmp_gt_u32_e64 s0, s10, v12
	s_and_saveexec_b32 s1, s0
	s_cbranch_execz .LBB10_13
; %bb.12:
	global_load_b64 v[5:6], v[9:10], off offset:4096
.LBB10_13:
	s_wait_alu 0xfffe
	s_or_b32 exec_lo, exec_lo, s1
	v_or_b32_e32 v12, 0x300, v0
	s_delay_alu instid0(VALU_DEP_1) | instskip(NEXT) | instid1(VALU_DEP_1)
	v_cmp_gt_u32_e64 s1, s10, v12
	s_and_saveexec_b32 s11, s1
	s_cbranch_execz .LBB10_15
; %bb.14:
	global_load_b64 v[7:8], v[9:10], off offset:6144
.LBB10_15:
	s_wait_alu 0xfffe
	s_or_b32 exec_lo, exec_lo, s11
	s_wait_loadcnt 0x0
	v_add_f64_e32 v[3:4], v[1:2], v[3:4]
	s_delay_alu instid0(VALU_DEP_1) | instskip(SKIP_1) | instid1(VALU_DEP_2)
	v_dual_cndmask_b32 v2, v2, v4 :: v_dual_cndmask_b32 v1, v1, v3
	v_cmp_ne_u32_e32 vcc_lo, 31, v11
	v_add_f64_e32 v[3:4], v[5:6], v[1:2]
	s_wait_alu 0xfffd
	v_add_co_ci_u32_e32 v5, vcc_lo, 0, v11, vcc_lo
	v_add_nc_u32_e32 v6, 1, v11
	s_delay_alu instid0(VALU_DEP_2) | instskip(NEXT) | instid1(VALU_DEP_4)
	v_lshlrev_b32_e32 v5, 2, v5
	v_cndmask_b32_e64 v2, v2, v4, s0
	v_cndmask_b32_e64 v1, v1, v3, s0
	s_min_u32 s0, s10, 0x100
	s_delay_alu instid0(VALU_DEP_1) | instskip(NEXT) | instid1(VALU_DEP_1)
	v_add_f64_e32 v[3:4], v[7:8], v[1:2]
	v_cndmask_b32_e64 v1, v1, v3, s1
	s_delay_alu instid0(VALU_DEP_2)
	v_cndmask_b32_e64 v2, v2, v4, s1
	s_mov_b32 s1, exec_lo
	ds_bpermute_b32 v3, v5, v1
	ds_bpermute_b32 v4, v5, v2
	v_and_b32_e32 v5, 0xe0, v0
	s_wait_alu 0xfffe
	s_delay_alu instid0(VALU_DEP_1) | instskip(NEXT) | instid1(VALU_DEP_1)
	v_sub_nc_u32_e64 v5, s0, v5 clamp
	v_cmpx_lt_u32_e64 v6, v5
	s_cbranch_execz .LBB10_17
; %bb.16:
	s_wait_dscnt 0x0
	v_add_f64_e32 v[1:2], v[1:2], v[3:4]
.LBB10_17:
	s_or_b32 exec_lo, exec_lo, s1
	v_cmp_gt_u32_e32 vcc_lo, 30, v11
	v_add_nc_u32_e32 v6, 2, v11
	s_mov_b32 s1, exec_lo
	s_wait_dscnt 0x1
	s_wait_alu 0xfffd
	v_cndmask_b32_e64 v3, 0, 1, vcc_lo
	s_delay_alu instid0(VALU_DEP_1) | instskip(SKIP_1) | instid1(VALU_DEP_1)
	v_lshlrev_b32_e32 v3, 1, v3
	s_wait_dscnt 0x0
	v_add_lshl_u32 v4, v3, v11, 2
	ds_bpermute_b32 v3, v4, v1
	ds_bpermute_b32 v4, v4, v2
	v_cmpx_lt_u32_e64 v6, v5
	s_cbranch_execz .LBB10_19
; %bb.18:
	s_wait_dscnt 0x0
	v_add_f64_e32 v[1:2], v[1:2], v[3:4]
.LBB10_19:
	s_wait_alu 0xfffe
	s_or_b32 exec_lo, exec_lo, s1
	v_cmp_gt_u32_e32 vcc_lo, 28, v11
	v_add_nc_u32_e32 v6, 4, v11
	s_mov_b32 s1, exec_lo
	s_wait_dscnt 0x1
	s_wait_alu 0xfffd
	v_cndmask_b32_e64 v3, 0, 1, vcc_lo
	s_delay_alu instid0(VALU_DEP_1) | instskip(SKIP_1) | instid1(VALU_DEP_1)
	v_lshlrev_b32_e32 v3, 2, v3
	s_wait_dscnt 0x0
	v_add_lshl_u32 v4, v3, v11, 2
	ds_bpermute_b32 v3, v4, v1
	ds_bpermute_b32 v4, v4, v2
	v_cmpx_lt_u32_e64 v6, v5
	s_cbranch_execz .LBB10_21
; %bb.20:
	s_wait_dscnt 0x0
	v_add_f64_e32 v[1:2], v[1:2], v[3:4]
.LBB10_21:
	s_wait_alu 0xfffe
	;; [unrolled: 20-line block ×4, first 2 shown]
	s_or_b32 exec_lo, exec_lo, s1
	s_delay_alu instid0(SALU_CYCLE_1)
	s_mov_b32 s1, exec_lo
	v_cmpx_eq_u32_e32 0, v11
	s_cbranch_execz .LBB10_27
; %bb.26:
	s_wait_dscnt 0x1
	v_lshrrev_b32_e32 v3, 2, v0
	s_delay_alu instid0(VALU_DEP_1)
	v_and_b32_e32 v3, 56, v3
	ds_store_b64 v3, v[1:2] offset:64
.LBB10_27:
	s_wait_alu 0xfffe
	s_or_b32 exec_lo, exec_lo, s1
	s_delay_alu instid0(SALU_CYCLE_1)
	s_mov_b32 s1, exec_lo
	global_wb scope:SCOPE_SE
	s_wait_dscnt 0x0
	s_barrier_signal -1
	s_barrier_wait -1
	global_inv scope:SCOPE_SE
	v_cmpx_gt_u32_e32 8, v0
	s_cbranch_execz .LBB10_35
; %bb.28:
	v_lshlrev_b32_e32 v1, 3, v11
	v_and_b32_e32 v5, 7, v11
	s_add_co_i32 s0, s0, 31
	s_mov_b32 s10, exec_lo
	s_wait_alu 0xfffe
	s_lshr_b32 s0, s0, 5
	ds_load_b64 v[1:2], v1 offset:64
	v_cmp_ne_u32_e32 vcc_lo, 7, v5
	v_add_nc_u32_e32 v6, 1, v5
	s_wait_alu 0xfffd
	v_add_co_ci_u32_e32 v3, vcc_lo, 0, v11, vcc_lo
	s_delay_alu instid0(VALU_DEP_1)
	v_lshlrev_b32_e32 v4, 2, v3
	s_wait_dscnt 0x0
	ds_bpermute_b32 v3, v4, v1
	ds_bpermute_b32 v4, v4, v2
	s_wait_alu 0xfffe
	v_cmpx_gt_u32_e64 s0, v6
	s_cbranch_execz .LBB10_30
; %bb.29:
	s_wait_dscnt 0x0
	v_add_f64_e32 v[1:2], v[1:2], v[3:4]
.LBB10_30:
	s_or_b32 exec_lo, exec_lo, s10
	v_cmp_gt_u32_e32 vcc_lo, 6, v5
	v_add_nc_u32_e32 v6, 2, v5
	s_mov_b32 s10, exec_lo
	s_wait_dscnt 0x1
	s_wait_alu 0xfffd
	v_cndmask_b32_e64 v3, 0, 1, vcc_lo
	s_delay_alu instid0(VALU_DEP_1) | instskip(SKIP_1) | instid1(VALU_DEP_1)
	v_lshlrev_b32_e32 v3, 1, v3
	s_wait_dscnt 0x0
	v_add_lshl_u32 v4, v3, v11, 2
	ds_bpermute_b32 v3, v4, v1
	ds_bpermute_b32 v4, v4, v2
	v_cmpx_gt_u32_e64 s0, v6
	s_cbranch_execz .LBB10_32
; %bb.31:
	s_wait_dscnt 0x0
	v_add_f64_e32 v[1:2], v[1:2], v[3:4]
.LBB10_32:
	s_wait_alu 0xfffe
	s_or_b32 exec_lo, exec_lo, s10
	v_cmp_gt_u32_e32 vcc_lo, 4, v5
	v_add_nc_u32_e32 v5, 4, v5
	s_wait_dscnt 0x1
	s_wait_alu 0xfffd
	v_cndmask_b32_e64 v3, 0, 1, vcc_lo
	s_delay_alu instid0(VALU_DEP_2) | instskip(NEXT) | instid1(VALU_DEP_2)
	v_cmp_gt_u32_e32 vcc_lo, s0, v5
	v_lshlrev_b32_e32 v3, 2, v3
	s_wait_dscnt 0x0
	s_delay_alu instid0(VALU_DEP_1)
	v_add_lshl_u32 v4, v3, v11, 2
	ds_bpermute_b32 v3, v4, v1
	ds_bpermute_b32 v4, v4, v2
	s_and_saveexec_b32 s0, vcc_lo
	s_cbranch_execz .LBB10_34
; %bb.33:
	s_wait_dscnt 0x0
	v_add_f64_e32 v[1:2], v[1:2], v[3:4]
.LBB10_34:
	s_wait_alu 0xfffe
	s_or_b32 exec_lo, exec_lo, s0
.LBB10_35:
	s_wait_alu 0xfffe
	s_or_b32 exec_lo, exec_lo, s1
.LBB10_36:
	s_delay_alu instid0(SALU_CYCLE_1)
	s_mov_b32 s0, exec_lo
	v_cmpx_eq_u32_e32 0, v0
	s_cbranch_execz .LBB10_38
; %bb.37:
	s_delay_alu instid0(VALU_DEP_2)
	v_add_f64_e32 v[0:1], s[6:7], v[1:2]
	s_lshl_b64 s[0:1], s[8:9], 3
	s_cmp_eq_u64 s[2:3], 0
	v_mov_b32_e32 v2, 0
	s_cselect_b32 s2, -1, 0
	s_wait_alu 0xfffe
	s_add_nc_u64 s[0:1], s[4:5], s[0:1]
	s_delay_alu instid0(VALU_DEP_2) | instskip(NEXT) | instid1(VALU_DEP_3)
	v_cndmask_b32_e64 v1, v1, s7, s2
	v_cndmask_b32_e64 v0, v0, s6, s2
	global_store_b64 v2, v[0:1], s[0:1]
.LBB10_38:
	s_nop 0
	s_sendmsg sendmsg(MSG_DEALLOC_VGPRS)
	s_endpgm
	.section	.rodata,"a",@progbits
	.p2align	6, 0x0
	.amdhsa_kernel _ZN7rocprim6detail19block_reduce_kernelILb1ELb0ELj4ENS0_21wrapped_reduce_configINS_14default_configEdEEdPdS5_dN6thrust4plusIdEEEEvT4_mT5_T6_T7_
		.amdhsa_group_segment_fixed_size 128
		.amdhsa_private_segment_fixed_size 0
		.amdhsa_kernarg_size 36
		.amdhsa_user_sgpr_count 2
		.amdhsa_user_sgpr_dispatch_ptr 0
		.amdhsa_user_sgpr_queue_ptr 0
		.amdhsa_user_sgpr_kernarg_segment_ptr 1
		.amdhsa_user_sgpr_dispatch_id 0
		.amdhsa_user_sgpr_private_segment_size 0
		.amdhsa_wavefront_size32 1
		.amdhsa_uses_dynamic_stack 0
		.amdhsa_enable_private_segment 0
		.amdhsa_system_sgpr_workgroup_id_x 1
		.amdhsa_system_sgpr_workgroup_id_y 0
		.amdhsa_system_sgpr_workgroup_id_z 0
		.amdhsa_system_sgpr_workgroup_info 0
		.amdhsa_system_vgpr_workitem_id 0
		.amdhsa_next_free_vgpr 13
		.amdhsa_next_free_sgpr 16
		.amdhsa_reserve_vcc 1
		.amdhsa_float_round_mode_32 0
		.amdhsa_float_round_mode_16_64 0
		.amdhsa_float_denorm_mode_32 3
		.amdhsa_float_denorm_mode_16_64 3
		.amdhsa_fp16_overflow 0
		.amdhsa_workgroup_processor_mode 1
		.amdhsa_memory_ordered 1
		.amdhsa_forward_progress 0
		.amdhsa_round_robin_scheduling 0
		.amdhsa_exception_fp_ieee_invalid_op 0
		.amdhsa_exception_fp_denorm_src 0
		.amdhsa_exception_fp_ieee_div_zero 0
		.amdhsa_exception_fp_ieee_overflow 0
		.amdhsa_exception_fp_ieee_underflow 0
		.amdhsa_exception_fp_ieee_inexact 0
		.amdhsa_exception_int_div_zero 0
	.end_amdhsa_kernel
	.section	.text._ZN7rocprim6detail19block_reduce_kernelILb1ELb0ELj4ENS0_21wrapped_reduce_configINS_14default_configEdEEdPdS5_dN6thrust4plusIdEEEEvT4_mT5_T6_T7_,"axG",@progbits,_ZN7rocprim6detail19block_reduce_kernelILb1ELb0ELj4ENS0_21wrapped_reduce_configINS_14default_configEdEEdPdS5_dN6thrust4plusIdEEEEvT4_mT5_T6_T7_,comdat
.Lfunc_end10:
	.size	_ZN7rocprim6detail19block_reduce_kernelILb1ELb0ELj4ENS0_21wrapped_reduce_configINS_14default_configEdEEdPdS5_dN6thrust4plusIdEEEEvT4_mT5_T6_T7_, .Lfunc_end10-_ZN7rocprim6detail19block_reduce_kernelILb1ELb0ELj4ENS0_21wrapped_reduce_configINS_14default_configEdEEdPdS5_dN6thrust4plusIdEEEEvT4_mT5_T6_T7_
                                        ; -- End function
	.section	.AMDGPU.csdata,"",@progbits
; Kernel info:
; codeLenInByte = 1796
; NumSgprs: 18
; NumVgprs: 13
; ScratchSize: 0
; MemoryBound: 1
; FloatMode: 240
; IeeeMode: 1
; LDSByteSize: 128 bytes/workgroup (compile time only)
; SGPRBlocks: 2
; VGPRBlocks: 1
; NumSGPRsForWavesPerEU: 18
; NumVGPRsForWavesPerEU: 13
; Occupancy: 16
; WaveLimiterHint : 1
; COMPUTE_PGM_RSRC2:SCRATCH_EN: 0
; COMPUTE_PGM_RSRC2:USER_SGPR: 2
; COMPUTE_PGM_RSRC2:TRAP_HANDLER: 0
; COMPUTE_PGM_RSRC2:TGID_X_EN: 1
; COMPUTE_PGM_RSRC2:TGID_Y_EN: 0
; COMPUTE_PGM_RSRC2:TGID_Z_EN: 0
; COMPUTE_PGM_RSRC2:TIDIG_COMP_CNT: 0
	.section	.text._ZN7rocprim6detail19block_reduce_kernelILb1ELb0ELj2ENS0_21wrapped_reduce_configINS_14default_configEdEEdPdS5_dN6thrust4plusIdEEEEvT4_mT5_T6_T7_,"axG",@progbits,_ZN7rocprim6detail19block_reduce_kernelILb1ELb0ELj2ENS0_21wrapped_reduce_configINS_14default_configEdEEdPdS5_dN6thrust4plusIdEEEEvT4_mT5_T6_T7_,comdat
	.protected	_ZN7rocprim6detail19block_reduce_kernelILb1ELb0ELj2ENS0_21wrapped_reduce_configINS_14default_configEdEEdPdS5_dN6thrust4plusIdEEEEvT4_mT5_T6_T7_ ; -- Begin function _ZN7rocprim6detail19block_reduce_kernelILb1ELb0ELj2ENS0_21wrapped_reduce_configINS_14default_configEdEEdPdS5_dN6thrust4plusIdEEEEvT4_mT5_T6_T7_
	.globl	_ZN7rocprim6detail19block_reduce_kernelILb1ELb0ELj2ENS0_21wrapped_reduce_configINS_14default_configEdEEdPdS5_dN6thrust4plusIdEEEEvT4_mT5_T6_T7_
	.p2align	8
	.type	_ZN7rocprim6detail19block_reduce_kernelILb1ELb0ELj2ENS0_21wrapped_reduce_configINS_14default_configEdEEdPdS5_dN6thrust4plusIdEEEEvT4_mT5_T6_T7_,@function
_ZN7rocprim6detail19block_reduce_kernelILb1ELb0ELj2ENS0_21wrapped_reduce_configINS_14default_configEdEEdPdS5_dN6thrust4plusIdEEEEvT4_mT5_T6_T7_: ; @_ZN7rocprim6detail19block_reduce_kernelILb1ELb0ELj2ENS0_21wrapped_reduce_configINS_14default_configEdEEdPdS5_dN6thrust4plusIdEEEEvT4_mT5_T6_T7_
; %bb.0:
	s_load_b256 s[4:11], s[0:1], 0x0
	s_mov_b32 s1, 0
	s_lshl_b32 s0, ttmp9, 11
	v_lshlrev_b32_e32 v1, 3, v0
	s_lshl_b64 s[2:3], s[0:1], 3
	s_mov_b32 s13, s1
	v_mbcnt_lo_u32_b32 v19, -1, 0
	s_mov_b32 s12, ttmp9
	s_wait_kmcnt 0x0
	s_add_nc_u64 s[2:3], s[4:5], s[2:3]
	s_lshr_b64 s[14:15], s[6:7], 11
	v_add_co_u32 v17, s1, s2, v1
	s_delay_alu instid0(VALU_DEP_1)
	v_add_co_ci_u32_e64 v18, null, s3, 0, s1
	s_cmp_lg_u64 s[14:15], s[12:13]
	s_cbranch_scc0 .LBB11_6
; %bb.1:
	s_clause 0x7
	global_load_b64 v[1:2], v[17:18], off
	global_load_b64 v[3:4], v[17:18], off offset:2048
	global_load_b64 v[5:6], v[17:18], off offset:4096
	;; [unrolled: 1-line block ×7, first 2 shown]
	s_mov_b32 s1, exec_lo
	s_wait_loadcnt 0x6
	v_add_f64_e32 v[1:2], v[1:2], v[3:4]
	s_wait_loadcnt 0x5
	s_delay_alu instid0(VALU_DEP_1) | instskip(SKIP_1) | instid1(VALU_DEP_1)
	v_add_f64_e32 v[1:2], v[1:2], v[5:6]
	s_wait_loadcnt 0x4
	v_add_f64_e32 v[1:2], v[1:2], v[7:8]
	s_wait_loadcnt 0x3
	s_delay_alu instid0(VALU_DEP_1) | instskip(SKIP_1) | instid1(VALU_DEP_1)
	v_add_f64_e32 v[1:2], v[1:2], v[9:10]
	;; [unrolled: 5-line block ×3, first 2 shown]
	s_wait_loadcnt 0x0
	v_add_f64_e32 v[1:2], v[1:2], v[15:16]
	s_delay_alu instid0(VALU_DEP_1) | instskip(NEXT) | instid1(VALU_DEP_2)
	v_mov_b32_dpp v3, v1 quad_perm:[1,0,3,2] row_mask:0xf bank_mask:0xf
	v_mov_b32_dpp v4, v2 quad_perm:[1,0,3,2] row_mask:0xf bank_mask:0xf
	s_delay_alu instid0(VALU_DEP_1) | instskip(NEXT) | instid1(VALU_DEP_1)
	v_add_f64_e32 v[1:2], v[1:2], v[3:4]
	v_mov_b32_dpp v3, v1 quad_perm:[2,3,0,1] row_mask:0xf bank_mask:0xf
	s_delay_alu instid0(VALU_DEP_2) | instskip(NEXT) | instid1(VALU_DEP_1)
	v_mov_b32_dpp v4, v2 quad_perm:[2,3,0,1] row_mask:0xf bank_mask:0xf
	v_add_f64_e32 v[1:2], v[1:2], v[3:4]
	s_delay_alu instid0(VALU_DEP_1) | instskip(NEXT) | instid1(VALU_DEP_2)
	v_mov_b32_dpp v3, v1 row_ror:4 row_mask:0xf bank_mask:0xf
	v_mov_b32_dpp v4, v2 row_ror:4 row_mask:0xf bank_mask:0xf
	s_delay_alu instid0(VALU_DEP_1) | instskip(NEXT) | instid1(VALU_DEP_1)
	v_add_f64_e32 v[1:2], v[1:2], v[3:4]
	v_mov_b32_dpp v3, v1 row_ror:8 row_mask:0xf bank_mask:0xf
	s_delay_alu instid0(VALU_DEP_2) | instskip(NEXT) | instid1(VALU_DEP_1)
	v_mov_b32_dpp v4, v2 row_ror:8 row_mask:0xf bank_mask:0xf
	v_add_f64_e32 v[1:2], v[1:2], v[3:4]
	ds_swizzle_b32 v3, v1 offset:swizzle(BROADCAST,32,15)
	ds_swizzle_b32 v4, v2 offset:swizzle(BROADCAST,32,15)
	s_wait_dscnt 0x0
	v_add_f64_e32 v[1:2], v[1:2], v[3:4]
	v_mov_b32_e32 v3, 0
	ds_bpermute_b32 v1, v3, v1 offset:124
	ds_bpermute_b32 v2, v3, v2 offset:124
	v_cmpx_eq_u32_e32 0, v19
	s_cbranch_execz .LBB11_3
; %bb.2:
	v_lshrrev_b32_e32 v3, 2, v0
	s_delay_alu instid0(VALU_DEP_1)
	v_and_b32_e32 v3, 56, v3
	s_wait_dscnt 0x0
	ds_store_b64 v3, v[1:2]
.LBB11_3:
	s_wait_alu 0xfffe
	s_or_b32 exec_lo, exec_lo, s1
	s_delay_alu instid0(SALU_CYCLE_1)
	s_mov_b32 s1, exec_lo
	global_wb scope:SCOPE_SE
	s_wait_dscnt 0x0
	s_barrier_signal -1
	s_barrier_wait -1
	global_inv scope:SCOPE_SE
	v_cmpx_gt_u32_e32 32, v0
	s_cbranch_execz .LBB11_5
; %bb.4:
	v_and_b32_e32 v5, 7, v19
	s_delay_alu instid0(VALU_DEP_1) | instskip(SKIP_4) | instid1(VALU_DEP_2)
	v_lshlrev_b32_e32 v1, 3, v5
	v_cmp_ne_u32_e32 vcc_lo, 7, v5
	ds_load_b64 v[1:2], v1
	v_add_co_ci_u32_e32 v3, vcc_lo, 0, v19, vcc_lo
	v_cmp_gt_u32_e32 vcc_lo, 6, v5
	v_lshlrev_b32_e32 v4, 2, v3
	s_wait_dscnt 0x0
	ds_bpermute_b32 v3, v4, v1
	ds_bpermute_b32 v4, v4, v2
	s_wait_dscnt 0x0
	v_add_f64_e32 v[1:2], v[1:2], v[3:4]
	s_wait_alu 0xfffd
	v_cndmask_b32_e64 v3, 0, 1, vcc_lo
	v_cmp_gt_u32_e32 vcc_lo, 4, v5
	s_delay_alu instid0(VALU_DEP_2) | instskip(NEXT) | instid1(VALU_DEP_1)
	v_lshlrev_b32_e32 v3, 1, v3
	v_add_lshl_u32 v4, v3, v19, 2
	ds_bpermute_b32 v3, v4, v1
	ds_bpermute_b32 v4, v4, v2
	s_wait_dscnt 0x0
	v_add_f64_e32 v[1:2], v[1:2], v[3:4]
	s_wait_alu 0xfffd
	v_cndmask_b32_e64 v3, 0, 1, vcc_lo
	s_delay_alu instid0(VALU_DEP_1) | instskip(NEXT) | instid1(VALU_DEP_1)
	v_lshlrev_b32_e32 v3, 2, v3
	v_add_lshl_u32 v4, v3, v19, 2
	ds_bpermute_b32 v3, v4, v1
	ds_bpermute_b32 v4, v4, v2
	s_wait_dscnt 0x0
	v_add_f64_e32 v[1:2], v[1:2], v[3:4]
.LBB11_5:
	s_wait_alu 0xfffe
	s_or_b32 exec_lo, exec_lo, s1
	s_branch .LBB11_44
.LBB11_6:
                                        ; implicit-def: $vgpr1_vgpr2
	s_cbranch_execz .LBB11_44
; %bb.7:
	s_sub_co_i32 s14, s6, s0
	s_mov_b32 s0, exec_lo
                                        ; implicit-def: $vgpr1_vgpr2_vgpr3_vgpr4_vgpr5_vgpr6_vgpr7_vgpr8_vgpr9_vgpr10_vgpr11_vgpr12_vgpr13_vgpr14_vgpr15_vgpr16
	v_cmpx_gt_u32_e64 s14, v0
	s_cbranch_execz .LBB11_9
; %bb.8:
	global_load_b64 v[1:2], v[17:18], off
.LBB11_9:
	s_wait_alu 0xfffe
	s_or_b32 exec_lo, exec_lo, s0
	v_or_b32_e32 v20, 0x100, v0
	s_delay_alu instid0(VALU_DEP_1)
	v_cmp_gt_u32_e32 vcc_lo, s14, v20
	s_and_saveexec_b32 s0, vcc_lo
	s_cbranch_execz .LBB11_11
; %bb.10:
	global_load_b64 v[3:4], v[17:18], off offset:2048
.LBB11_11:
	s_wait_alu 0xfffe
	s_or_b32 exec_lo, exec_lo, s0
	v_or_b32_e32 v20, 0x200, v0
	s_delay_alu instid0(VALU_DEP_1) | instskip(NEXT) | instid1(VALU_DEP_1)
	v_cmp_gt_u32_e64 s0, s14, v20
	s_and_saveexec_b32 s1, s0
	s_cbranch_execz .LBB11_13
; %bb.12:
	global_load_b64 v[5:6], v[17:18], off offset:4096
.LBB11_13:
	s_wait_alu 0xfffe
	s_or_b32 exec_lo, exec_lo, s1
	v_or_b32_e32 v20, 0x300, v0
	s_delay_alu instid0(VALU_DEP_1) | instskip(NEXT) | instid1(VALU_DEP_1)
	v_cmp_gt_u32_e64 s1, s14, v20
	s_and_saveexec_b32 s2, s1
	;; [unrolled: 10-line block ×4, first 2 shown]
	s_cbranch_execz .LBB11_19
; %bb.18:
	global_load_b64 v[11:12], v[17:18], off offset:10240
.LBB11_19:
	s_or_b32 exec_lo, exec_lo, s4
	v_or_b32_e32 v20, 0x600, v0
	s_delay_alu instid0(VALU_DEP_1) | instskip(NEXT) | instid1(VALU_DEP_1)
	v_cmp_gt_u32_e64 s4, s14, v20
	s_and_saveexec_b32 s5, s4
	s_cbranch_execz .LBB11_21
; %bb.20:
	global_load_b64 v[13:14], v[17:18], off offset:12288
.LBB11_21:
	s_or_b32 exec_lo, exec_lo, s5
	v_or_b32_e32 v20, 0x700, v0
	s_delay_alu instid0(VALU_DEP_1) | instskip(NEXT) | instid1(VALU_DEP_1)
	v_cmp_gt_u32_e64 s5, s14, v20
	s_and_saveexec_b32 s15, s5
	s_cbranch_execz .LBB11_23
; %bb.22:
	global_load_b64 v[15:16], v[17:18], off offset:14336
.LBB11_23:
	s_wait_alu 0xfffe
	s_or_b32 exec_lo, exec_lo, s15
	s_wait_loadcnt 0x0
	v_add_f64_e32 v[3:4], v[1:2], v[3:4]
	s_delay_alu instid0(VALU_DEP_1) | instskip(SKIP_1) | instid1(VALU_DEP_2)
	v_dual_cndmask_b32 v2, v2, v4 :: v_dual_cndmask_b32 v1, v1, v3
	v_cmp_ne_u32_e32 vcc_lo, 31, v19
	v_add_f64_e32 v[3:4], v[5:6], v[1:2]
	s_wait_alu 0xfffd
	v_add_co_ci_u32_e32 v5, vcc_lo, 0, v19, vcc_lo
	v_add_nc_u32_e32 v6, 1, v19
	s_delay_alu instid0(VALU_DEP_2) | instskip(NEXT) | instid1(VALU_DEP_4)
	v_lshlrev_b32_e32 v5, 2, v5
	v_cndmask_b32_e64 v2, v2, v4, s0
	v_cndmask_b32_e64 v1, v1, v3, s0
	s_min_u32 s0, s14, 0x100
	s_delay_alu instid0(VALU_DEP_1) | instskip(NEXT) | instid1(VALU_DEP_1)
	v_add_f64_e32 v[3:4], v[7:8], v[1:2]
	v_cndmask_b32_e64 v2, v2, v4, s1
	s_delay_alu instid0(VALU_DEP_2) | instskip(SKIP_1) | instid1(VALU_DEP_1)
	v_cndmask_b32_e64 v1, v1, v3, s1
	s_mov_b32 s1, exec_lo
	v_add_f64_e32 v[3:4], v[9:10], v[1:2]
	s_delay_alu instid0(VALU_DEP_1) | instskip(NEXT) | instid1(VALU_DEP_2)
	v_cndmask_b32_e64 v2, v2, v4, s2
	v_cndmask_b32_e64 v1, v1, v3, s2
	s_delay_alu instid0(VALU_DEP_1) | instskip(NEXT) | instid1(VALU_DEP_1)
	v_add_f64_e32 v[3:4], v[11:12], v[1:2]
	v_cndmask_b32_e64 v2, v2, v4, s3
	s_delay_alu instid0(VALU_DEP_2) | instskip(NEXT) | instid1(VALU_DEP_1)
	v_cndmask_b32_e64 v1, v1, v3, s3
	v_add_f64_e32 v[3:4], v[13:14], v[1:2]
	s_delay_alu instid0(VALU_DEP_1) | instskip(NEXT) | instid1(VALU_DEP_2)
	v_cndmask_b32_e64 v2, v2, v4, s4
	v_cndmask_b32_e64 v1, v1, v3, s4
	s_delay_alu instid0(VALU_DEP_1) | instskip(NEXT) | instid1(VALU_DEP_1)
	v_add_f64_e32 v[3:4], v[15:16], v[1:2]
	v_cndmask_b32_e64 v1, v1, v3, s5
	s_delay_alu instid0(VALU_DEP_2) | instskip(SKIP_4) | instid1(VALU_DEP_1)
	v_cndmask_b32_e64 v2, v2, v4, s5
	ds_bpermute_b32 v3, v5, v1
	ds_bpermute_b32 v4, v5, v2
	v_and_b32_e32 v5, 0xe0, v0
	s_wait_alu 0xfffe
	v_sub_nc_u32_e64 v5, s0, v5 clamp
	s_delay_alu instid0(VALU_DEP_1)
	v_cmpx_lt_u32_e64 v6, v5
	s_cbranch_execz .LBB11_25
; %bb.24:
	s_wait_dscnt 0x0
	v_add_f64_e32 v[1:2], v[1:2], v[3:4]
.LBB11_25:
	s_or_b32 exec_lo, exec_lo, s1
	v_cmp_gt_u32_e32 vcc_lo, 30, v19
	v_add_nc_u32_e32 v6, 2, v19
	s_mov_b32 s1, exec_lo
	s_wait_dscnt 0x1
	s_wait_alu 0xfffd
	v_cndmask_b32_e64 v3, 0, 1, vcc_lo
	s_delay_alu instid0(VALU_DEP_1) | instskip(SKIP_1) | instid1(VALU_DEP_1)
	v_lshlrev_b32_e32 v3, 1, v3
	s_wait_dscnt 0x0
	v_add_lshl_u32 v4, v3, v19, 2
	ds_bpermute_b32 v3, v4, v1
	ds_bpermute_b32 v4, v4, v2
	v_cmpx_lt_u32_e64 v6, v5
	s_cbranch_execz .LBB11_27
; %bb.26:
	s_wait_dscnt 0x0
	v_add_f64_e32 v[1:2], v[1:2], v[3:4]
.LBB11_27:
	s_wait_alu 0xfffe
	s_or_b32 exec_lo, exec_lo, s1
	v_cmp_gt_u32_e32 vcc_lo, 28, v19
	v_add_nc_u32_e32 v6, 4, v19
	s_mov_b32 s1, exec_lo
	s_wait_dscnt 0x1
	s_wait_alu 0xfffd
	v_cndmask_b32_e64 v3, 0, 1, vcc_lo
	s_delay_alu instid0(VALU_DEP_1) | instskip(SKIP_1) | instid1(VALU_DEP_1)
	v_lshlrev_b32_e32 v3, 2, v3
	s_wait_dscnt 0x0
	v_add_lshl_u32 v4, v3, v19, 2
	ds_bpermute_b32 v3, v4, v1
	ds_bpermute_b32 v4, v4, v2
	v_cmpx_lt_u32_e64 v6, v5
	s_cbranch_execz .LBB11_29
; %bb.28:
	s_wait_dscnt 0x0
	v_add_f64_e32 v[1:2], v[1:2], v[3:4]
.LBB11_29:
	s_wait_alu 0xfffe
	;; [unrolled: 20-line block ×4, first 2 shown]
	s_or_b32 exec_lo, exec_lo, s1
	s_delay_alu instid0(SALU_CYCLE_1)
	s_mov_b32 s1, exec_lo
	v_cmpx_eq_u32_e32 0, v19
	s_cbranch_execz .LBB11_35
; %bb.34:
	s_wait_dscnt 0x1
	v_lshrrev_b32_e32 v3, 2, v0
	s_delay_alu instid0(VALU_DEP_1)
	v_and_b32_e32 v3, 56, v3
	ds_store_b64 v3, v[1:2] offset:64
.LBB11_35:
	s_wait_alu 0xfffe
	s_or_b32 exec_lo, exec_lo, s1
	s_delay_alu instid0(SALU_CYCLE_1)
	s_mov_b32 s1, exec_lo
	global_wb scope:SCOPE_SE
	s_wait_dscnt 0x0
	s_barrier_signal -1
	s_barrier_wait -1
	global_inv scope:SCOPE_SE
	v_cmpx_gt_u32_e32 8, v0
	s_cbranch_execz .LBB11_43
; %bb.36:
	v_lshlrev_b32_e32 v1, 3, v19
	v_and_b32_e32 v5, 7, v19
	s_add_co_i32 s0, s0, 31
	s_mov_b32 s2, exec_lo
	s_wait_alu 0xfffe
	s_lshr_b32 s0, s0, 5
	ds_load_b64 v[1:2], v1 offset:64
	v_cmp_ne_u32_e32 vcc_lo, 7, v5
	v_add_nc_u32_e32 v6, 1, v5
	s_wait_alu 0xfffd
	v_add_co_ci_u32_e32 v3, vcc_lo, 0, v19, vcc_lo
	s_delay_alu instid0(VALU_DEP_1)
	v_lshlrev_b32_e32 v4, 2, v3
	s_wait_dscnt 0x0
	ds_bpermute_b32 v3, v4, v1
	ds_bpermute_b32 v4, v4, v2
	s_wait_alu 0xfffe
	v_cmpx_gt_u32_e64 s0, v6
	s_cbranch_execz .LBB11_38
; %bb.37:
	s_wait_dscnt 0x0
	v_add_f64_e32 v[1:2], v[1:2], v[3:4]
.LBB11_38:
	s_or_b32 exec_lo, exec_lo, s2
	v_cmp_gt_u32_e32 vcc_lo, 6, v5
	v_add_nc_u32_e32 v6, 2, v5
	s_mov_b32 s2, exec_lo
	s_wait_dscnt 0x1
	s_wait_alu 0xfffd
	v_cndmask_b32_e64 v3, 0, 1, vcc_lo
	s_delay_alu instid0(VALU_DEP_1) | instskip(SKIP_1) | instid1(VALU_DEP_1)
	v_lshlrev_b32_e32 v3, 1, v3
	s_wait_dscnt 0x0
	v_add_lshl_u32 v4, v3, v19, 2
	ds_bpermute_b32 v3, v4, v1
	ds_bpermute_b32 v4, v4, v2
	v_cmpx_gt_u32_e64 s0, v6
	s_cbranch_execz .LBB11_40
; %bb.39:
	s_wait_dscnt 0x0
	v_add_f64_e32 v[1:2], v[1:2], v[3:4]
.LBB11_40:
	s_wait_alu 0xfffe
	s_or_b32 exec_lo, exec_lo, s2
	v_cmp_gt_u32_e32 vcc_lo, 4, v5
	v_add_nc_u32_e32 v5, 4, v5
	s_wait_dscnt 0x1
	s_wait_alu 0xfffd
	v_cndmask_b32_e64 v3, 0, 1, vcc_lo
	s_delay_alu instid0(VALU_DEP_2) | instskip(NEXT) | instid1(VALU_DEP_2)
	v_cmp_gt_u32_e32 vcc_lo, s0, v5
	v_lshlrev_b32_e32 v3, 2, v3
	s_wait_dscnt 0x0
	s_delay_alu instid0(VALU_DEP_1)
	v_add_lshl_u32 v4, v3, v19, 2
	ds_bpermute_b32 v3, v4, v1
	ds_bpermute_b32 v4, v4, v2
	s_and_saveexec_b32 s0, vcc_lo
	s_cbranch_execz .LBB11_42
; %bb.41:
	s_wait_dscnt 0x0
	v_add_f64_e32 v[1:2], v[1:2], v[3:4]
.LBB11_42:
	s_wait_alu 0xfffe
	s_or_b32 exec_lo, exec_lo, s0
.LBB11_43:
	s_wait_alu 0xfffe
	s_or_b32 exec_lo, exec_lo, s1
.LBB11_44:
	s_delay_alu instid0(SALU_CYCLE_1)
	s_mov_b32 s0, exec_lo
	v_cmpx_eq_u32_e32 0, v0
	s_cbranch_execz .LBB11_46
; %bb.45:
	s_delay_alu instid0(VALU_DEP_2)
	v_add_f64_e32 v[0:1], s[10:11], v[1:2]
	s_lshl_b64 s[0:1], s[12:13], 3
	s_cmp_eq_u64 s[6:7], 0
	v_mov_b32_e32 v2, 0
	s_cselect_b32 s2, -1, 0
	s_wait_alu 0xfffe
	s_add_nc_u64 s[0:1], s[8:9], s[0:1]
	s_delay_alu instid0(VALU_DEP_2) | instskip(NEXT) | instid1(VALU_DEP_3)
	v_cndmask_b32_e64 v1, v1, s11, s2
	v_cndmask_b32_e64 v0, v0, s10, s2
	global_store_b64 v2, v[0:1], s[0:1]
.LBB11_46:
	s_nop 0
	s_sendmsg sendmsg(MSG_DEALLOC_VGPRS)
	s_endpgm
	.section	.rodata,"a",@progbits
	.p2align	6, 0x0
	.amdhsa_kernel _ZN7rocprim6detail19block_reduce_kernelILb1ELb0ELj2ENS0_21wrapped_reduce_configINS_14default_configEdEEdPdS5_dN6thrust4plusIdEEEEvT4_mT5_T6_T7_
		.amdhsa_group_segment_fixed_size 128
		.amdhsa_private_segment_fixed_size 0
		.amdhsa_kernarg_size 36
		.amdhsa_user_sgpr_count 2
		.amdhsa_user_sgpr_dispatch_ptr 0
		.amdhsa_user_sgpr_queue_ptr 0
		.amdhsa_user_sgpr_kernarg_segment_ptr 1
		.amdhsa_user_sgpr_dispatch_id 0
		.amdhsa_user_sgpr_private_segment_size 0
		.amdhsa_wavefront_size32 1
		.amdhsa_uses_dynamic_stack 0
		.amdhsa_enable_private_segment 0
		.amdhsa_system_sgpr_workgroup_id_x 1
		.amdhsa_system_sgpr_workgroup_id_y 0
		.amdhsa_system_sgpr_workgroup_id_z 0
		.amdhsa_system_sgpr_workgroup_info 0
		.amdhsa_system_vgpr_workitem_id 0
		.amdhsa_next_free_vgpr 21
		.amdhsa_next_free_sgpr 16
		.amdhsa_reserve_vcc 1
		.amdhsa_float_round_mode_32 0
		.amdhsa_float_round_mode_16_64 0
		.amdhsa_float_denorm_mode_32 3
		.amdhsa_float_denorm_mode_16_64 3
		.amdhsa_fp16_overflow 0
		.amdhsa_workgroup_processor_mode 1
		.amdhsa_memory_ordered 1
		.amdhsa_forward_progress 0
		.amdhsa_round_robin_scheduling 0
		.amdhsa_exception_fp_ieee_invalid_op 0
		.amdhsa_exception_fp_denorm_src 0
		.amdhsa_exception_fp_ieee_div_zero 0
		.amdhsa_exception_fp_ieee_overflow 0
		.amdhsa_exception_fp_ieee_underflow 0
		.amdhsa_exception_fp_ieee_inexact 0
		.amdhsa_exception_int_div_zero 0
	.end_amdhsa_kernel
	.section	.text._ZN7rocprim6detail19block_reduce_kernelILb1ELb0ELj2ENS0_21wrapped_reduce_configINS_14default_configEdEEdPdS5_dN6thrust4plusIdEEEEvT4_mT5_T6_T7_,"axG",@progbits,_ZN7rocprim6detail19block_reduce_kernelILb1ELb0ELj2ENS0_21wrapped_reduce_configINS_14default_configEdEEdPdS5_dN6thrust4plusIdEEEEvT4_mT5_T6_T7_,comdat
.Lfunc_end11:
	.size	_ZN7rocprim6detail19block_reduce_kernelILb1ELb0ELj2ENS0_21wrapped_reduce_configINS_14default_configEdEEdPdS5_dN6thrust4plusIdEEEEvT4_mT5_T6_T7_, .Lfunc_end11-_ZN7rocprim6detail19block_reduce_kernelILb1ELb0ELj2ENS0_21wrapped_reduce_configINS_14default_configEdEEdPdS5_dN6thrust4plusIdEEEEvT4_mT5_T6_T7_
                                        ; -- End function
	.section	.AMDGPU.csdata,"",@progbits
; Kernel info:
; codeLenInByte = 2172
; NumSgprs: 18
; NumVgprs: 21
; ScratchSize: 0
; MemoryBound: 1
; FloatMode: 240
; IeeeMode: 1
; LDSByteSize: 128 bytes/workgroup (compile time only)
; SGPRBlocks: 2
; VGPRBlocks: 2
; NumSGPRsForWavesPerEU: 18
; NumVGPRsForWavesPerEU: 21
; Occupancy: 16
; WaveLimiterHint : 1
; COMPUTE_PGM_RSRC2:SCRATCH_EN: 0
; COMPUTE_PGM_RSRC2:USER_SGPR: 2
; COMPUTE_PGM_RSRC2:TRAP_HANDLER: 0
; COMPUTE_PGM_RSRC2:TGID_X_EN: 1
; COMPUTE_PGM_RSRC2:TGID_Y_EN: 0
; COMPUTE_PGM_RSRC2:TGID_Z_EN: 0
; COMPUTE_PGM_RSRC2:TIDIG_COMP_CNT: 0
	.section	.text._ZN7rocprim6detail19block_reduce_kernelILb1ELb0ELj1ENS0_21wrapped_reduce_configINS_14default_configEdEEdPdS5_dN6thrust4plusIdEEEEvT4_mT5_T6_T7_,"axG",@progbits,_ZN7rocprim6detail19block_reduce_kernelILb1ELb0ELj1ENS0_21wrapped_reduce_configINS_14default_configEdEEdPdS5_dN6thrust4plusIdEEEEvT4_mT5_T6_T7_,comdat
	.protected	_ZN7rocprim6detail19block_reduce_kernelILb1ELb0ELj1ENS0_21wrapped_reduce_configINS_14default_configEdEEdPdS5_dN6thrust4plusIdEEEEvT4_mT5_T6_T7_ ; -- Begin function _ZN7rocprim6detail19block_reduce_kernelILb1ELb0ELj1ENS0_21wrapped_reduce_configINS_14default_configEdEEdPdS5_dN6thrust4plusIdEEEEvT4_mT5_T6_T7_
	.globl	_ZN7rocprim6detail19block_reduce_kernelILb1ELb0ELj1ENS0_21wrapped_reduce_configINS_14default_configEdEEdPdS5_dN6thrust4plusIdEEEEvT4_mT5_T6_T7_
	.p2align	8
	.type	_ZN7rocprim6detail19block_reduce_kernelILb1ELb0ELj1ENS0_21wrapped_reduce_configINS_14default_configEdEEdPdS5_dN6thrust4plusIdEEEEvT4_mT5_T6_T7_,@function
_ZN7rocprim6detail19block_reduce_kernelILb1ELb0ELj1ENS0_21wrapped_reduce_configINS_14default_configEdEEdPdS5_dN6thrust4plusIdEEEEvT4_mT5_T6_T7_: ; @_ZN7rocprim6detail19block_reduce_kernelILb1ELb0ELj1ENS0_21wrapped_reduce_configINS_14default_configEdEEdPdS5_dN6thrust4plusIdEEEEvT4_mT5_T6_T7_
; %bb.0:
	s_load_b256 s[12:19], s[0:1], 0x0
	s_mov_b32 s1, 0
	s_lshl_b32 s0, ttmp9, 12
	v_lshlrev_b32_e32 v1, 3, v0
	s_lshl_b64 s[2:3], s[0:1], 3
	s_mov_b32 s21, s1
	v_mbcnt_lo_u32_b32 v35, -1, 0
	s_mov_b32 s20, ttmp9
	s_wait_kmcnt 0x0
	s_add_nc_u64 s[2:3], s[12:13], s[2:3]
	s_lshr_b64 s[4:5], s[14:15], 12
	v_add_co_u32 v33, s1, s2, v1
	s_delay_alu instid0(VALU_DEP_1)
	v_add_co_ci_u32_e64 v34, null, s3, 0, s1
	s_cmp_lg_u64 s[4:5], s[20:21]
	s_cbranch_scc0 .LBB12_6
; %bb.1:
	s_clause 0x9
	global_load_b64 v[1:2], v[33:34], off
	global_load_b64 v[3:4], v[33:34], off offset:2048
	global_load_b64 v[5:6], v[33:34], off offset:4096
	;; [unrolled: 1-line block ×9, first 2 shown]
	s_mov_b32 s1, exec_lo
	s_wait_loadcnt 0x8
	v_add_f64_e32 v[1:2], v[1:2], v[3:4]
	global_load_b64 v[3:4], v[33:34], off offset:20480
	s_wait_loadcnt 0x8
	v_add_f64_e32 v[1:2], v[1:2], v[5:6]
	global_load_b64 v[5:6], v[33:34], off offset:22528
	s_wait_loadcnt 0x8
	v_add_f64_e32 v[1:2], v[1:2], v[7:8]
	global_load_b64 v[7:8], v[33:34], off offset:24576
	s_wait_loadcnt 0x8
	v_add_f64_e32 v[1:2], v[1:2], v[9:10]
	global_load_b64 v[9:10], v[33:34], off offset:26624
	s_wait_loadcnt 0x8
	v_add_f64_e32 v[1:2], v[1:2], v[11:12]
	global_load_b64 v[11:12], v[33:34], off offset:28672
	s_wait_loadcnt 0x8
	v_add_f64_e32 v[1:2], v[1:2], v[13:14]
	global_load_b64 v[13:14], v[33:34], off offset:30720
	s_wait_loadcnt 0x8
	v_add_f64_e32 v[1:2], v[1:2], v[15:16]
	s_wait_loadcnt 0x7
	s_delay_alu instid0(VALU_DEP_1) | instskip(SKIP_1) | instid1(VALU_DEP_1)
	v_add_f64_e32 v[1:2], v[1:2], v[17:18]
	s_wait_loadcnt 0x6
	v_add_f64_e32 v[1:2], v[1:2], v[19:20]
	s_wait_loadcnt 0x5
	s_delay_alu instid0(VALU_DEP_1) | instskip(SKIP_1) | instid1(VALU_DEP_1)
	v_add_f64_e32 v[1:2], v[1:2], v[3:4]
	;; [unrolled: 5-line block ×4, first 2 shown]
	s_wait_loadcnt 0x0
	v_add_f64_e32 v[1:2], v[1:2], v[13:14]
	s_delay_alu instid0(VALU_DEP_1) | instskip(NEXT) | instid1(VALU_DEP_2)
	v_mov_b32_dpp v3, v1 quad_perm:[1,0,3,2] row_mask:0xf bank_mask:0xf
	v_mov_b32_dpp v4, v2 quad_perm:[1,0,3,2] row_mask:0xf bank_mask:0xf
	s_delay_alu instid0(VALU_DEP_1) | instskip(NEXT) | instid1(VALU_DEP_1)
	v_add_f64_e32 v[1:2], v[1:2], v[3:4]
	v_mov_b32_dpp v3, v1 quad_perm:[2,3,0,1] row_mask:0xf bank_mask:0xf
	s_delay_alu instid0(VALU_DEP_2) | instskip(NEXT) | instid1(VALU_DEP_1)
	v_mov_b32_dpp v4, v2 quad_perm:[2,3,0,1] row_mask:0xf bank_mask:0xf
	v_add_f64_e32 v[1:2], v[1:2], v[3:4]
	s_delay_alu instid0(VALU_DEP_1) | instskip(NEXT) | instid1(VALU_DEP_2)
	v_mov_b32_dpp v3, v1 row_ror:4 row_mask:0xf bank_mask:0xf
	v_mov_b32_dpp v4, v2 row_ror:4 row_mask:0xf bank_mask:0xf
	s_delay_alu instid0(VALU_DEP_1) | instskip(NEXT) | instid1(VALU_DEP_1)
	v_add_f64_e32 v[1:2], v[1:2], v[3:4]
	v_mov_b32_dpp v3, v1 row_ror:8 row_mask:0xf bank_mask:0xf
	s_delay_alu instid0(VALU_DEP_2) | instskip(NEXT) | instid1(VALU_DEP_1)
	v_mov_b32_dpp v4, v2 row_ror:8 row_mask:0xf bank_mask:0xf
	v_add_f64_e32 v[1:2], v[1:2], v[3:4]
	ds_swizzle_b32 v3, v1 offset:swizzle(BROADCAST,32,15)
	ds_swizzle_b32 v4, v2 offset:swizzle(BROADCAST,32,15)
	s_wait_dscnt 0x0
	v_add_f64_e32 v[1:2], v[1:2], v[3:4]
	v_mov_b32_e32 v3, 0
	ds_bpermute_b32 v1, v3, v1 offset:124
	ds_bpermute_b32 v2, v3, v2 offset:124
	v_cmpx_eq_u32_e32 0, v35
	s_cbranch_execz .LBB12_3
; %bb.2:
	v_lshrrev_b32_e32 v3, 2, v0
	s_delay_alu instid0(VALU_DEP_1)
	v_and_b32_e32 v3, 56, v3
	s_wait_dscnt 0x0
	ds_store_b64 v3, v[1:2]
.LBB12_3:
	s_wait_alu 0xfffe
	s_or_b32 exec_lo, exec_lo, s1
	s_delay_alu instid0(SALU_CYCLE_1)
	s_mov_b32 s1, exec_lo
	global_wb scope:SCOPE_SE
	s_wait_dscnt 0x0
	s_barrier_signal -1
	s_barrier_wait -1
	global_inv scope:SCOPE_SE
	v_cmpx_gt_u32_e32 32, v0
	s_cbranch_execz .LBB12_5
; %bb.4:
	v_and_b32_e32 v5, 7, v35
	s_delay_alu instid0(VALU_DEP_1) | instskip(SKIP_4) | instid1(VALU_DEP_2)
	v_lshlrev_b32_e32 v1, 3, v5
	v_cmp_ne_u32_e32 vcc_lo, 7, v5
	ds_load_b64 v[1:2], v1
	v_add_co_ci_u32_e32 v3, vcc_lo, 0, v35, vcc_lo
	v_cmp_gt_u32_e32 vcc_lo, 6, v5
	v_lshlrev_b32_e32 v4, 2, v3
	s_wait_dscnt 0x0
	ds_bpermute_b32 v3, v4, v1
	ds_bpermute_b32 v4, v4, v2
	s_wait_dscnt 0x0
	v_add_f64_e32 v[1:2], v[1:2], v[3:4]
	s_wait_alu 0xfffd
	v_cndmask_b32_e64 v3, 0, 1, vcc_lo
	v_cmp_gt_u32_e32 vcc_lo, 4, v5
	s_delay_alu instid0(VALU_DEP_2) | instskip(NEXT) | instid1(VALU_DEP_1)
	v_lshlrev_b32_e32 v3, 1, v3
	v_add_lshl_u32 v4, v3, v35, 2
	ds_bpermute_b32 v3, v4, v1
	ds_bpermute_b32 v4, v4, v2
	s_wait_dscnt 0x0
	v_add_f64_e32 v[1:2], v[1:2], v[3:4]
	s_wait_alu 0xfffd
	v_cndmask_b32_e64 v3, 0, 1, vcc_lo
	s_delay_alu instid0(VALU_DEP_1) | instskip(NEXT) | instid1(VALU_DEP_1)
	v_lshlrev_b32_e32 v3, 2, v3
	v_add_lshl_u32 v4, v3, v35, 2
	ds_bpermute_b32 v3, v4, v1
	ds_bpermute_b32 v4, v4, v2
	s_wait_dscnt 0x0
	v_add_f64_e32 v[1:2], v[1:2], v[3:4]
.LBB12_5:
	s_wait_alu 0xfffe
	s_or_b32 exec_lo, exec_lo, s1
	s_branch .LBB12_60
.LBB12_6:
                                        ; implicit-def: $vgpr1_vgpr2
	s_cbranch_execz .LBB12_60
; %bb.7:
	s_sub_co_i32 s22, s14, s0
	s_mov_b32 s0, exec_lo
                                        ; implicit-def: $vgpr1_vgpr2_vgpr3_vgpr4_vgpr5_vgpr6_vgpr7_vgpr8_vgpr9_vgpr10_vgpr11_vgpr12_vgpr13_vgpr14_vgpr15_vgpr16_vgpr17_vgpr18_vgpr19_vgpr20_vgpr21_vgpr22_vgpr23_vgpr24_vgpr25_vgpr26_vgpr27_vgpr28_vgpr29_vgpr30_vgpr31_vgpr32
	v_cmpx_gt_u32_e64 s22, v0
	s_cbranch_execz .LBB12_9
; %bb.8:
	global_load_b64 v[1:2], v[33:34], off
.LBB12_9:
	s_wait_alu 0xfffe
	s_or_b32 exec_lo, exec_lo, s0
	v_or_b32_e32 v36, 0x100, v0
	s_delay_alu instid0(VALU_DEP_1)
	v_cmp_gt_u32_e32 vcc_lo, s22, v36
	s_and_saveexec_b32 s0, vcc_lo
	s_cbranch_execz .LBB12_11
; %bb.10:
	global_load_b64 v[3:4], v[33:34], off offset:2048
.LBB12_11:
	s_wait_alu 0xfffe
	s_or_b32 exec_lo, exec_lo, s0
	v_or_b32_e32 v36, 0x200, v0
	s_delay_alu instid0(VALU_DEP_1) | instskip(NEXT) | instid1(VALU_DEP_1)
	v_cmp_gt_u32_e64 s0, s22, v36
	s_and_saveexec_b32 s1, s0
	s_cbranch_execz .LBB12_13
; %bb.12:
	global_load_b64 v[5:6], v[33:34], off offset:4096
.LBB12_13:
	s_wait_alu 0xfffe
	s_or_b32 exec_lo, exec_lo, s1
	v_or_b32_e32 v36, 0x300, v0
	s_delay_alu instid0(VALU_DEP_1) | instskip(NEXT) | instid1(VALU_DEP_1)
	v_cmp_gt_u32_e64 s1, s22, v36
	s_and_saveexec_b32 s2, s1
	;; [unrolled: 10-line block ×4, first 2 shown]
	s_cbranch_execz .LBB12_19
; %bb.18:
	global_load_b64 v[11:12], v[33:34], off offset:10240
.LBB12_19:
	s_or_b32 exec_lo, exec_lo, s4
	v_or_b32_e32 v36, 0x600, v0
	s_delay_alu instid0(VALU_DEP_1) | instskip(NEXT) | instid1(VALU_DEP_1)
	v_cmp_gt_u32_e64 s4, s22, v36
	s_and_saveexec_b32 s5, s4
	s_cbranch_execz .LBB12_21
; %bb.20:
	global_load_b64 v[13:14], v[33:34], off offset:12288
.LBB12_21:
	s_or_b32 exec_lo, exec_lo, s5
	v_or_b32_e32 v36, 0x700, v0
	s_delay_alu instid0(VALU_DEP_1) | instskip(NEXT) | instid1(VALU_DEP_1)
	v_cmp_gt_u32_e64 s5, s22, v36
	s_and_saveexec_b32 s6, s5
	;; [unrolled: 9-line block ×10, first 2 shown]
	s_cbranch_execz .LBB12_39
; %bb.38:
	global_load_b64 v[31:32], v[33:34], off offset:30720
.LBB12_39:
	s_wait_alu 0xfffe
	s_or_b32 exec_lo, exec_lo, s23
	s_wait_loadcnt 0x0
	v_add_f64_e32 v[3:4], v[1:2], v[3:4]
	s_delay_alu instid0(VALU_DEP_1) | instskip(SKIP_1) | instid1(VALU_DEP_2)
	v_dual_cndmask_b32 v2, v2, v4 :: v_dual_cndmask_b32 v1, v1, v3
	v_cmp_ne_u32_e32 vcc_lo, 31, v35
	v_add_f64_e32 v[3:4], v[5:6], v[1:2]
	s_wait_alu 0xfffd
	v_add_co_ci_u32_e32 v5, vcc_lo, 0, v35, vcc_lo
	v_add_nc_u32_e32 v6, 1, v35
	s_delay_alu instid0(VALU_DEP_2) | instskip(NEXT) | instid1(VALU_DEP_4)
	v_lshlrev_b32_e32 v5, 2, v5
	v_cndmask_b32_e64 v2, v2, v4, s0
	v_cndmask_b32_e64 v1, v1, v3, s0
	s_min_u32 s0, s22, 0x100
	s_delay_alu instid0(VALU_DEP_1) | instskip(NEXT) | instid1(VALU_DEP_1)
	v_add_f64_e32 v[3:4], v[7:8], v[1:2]
	v_cndmask_b32_e64 v2, v2, v4, s1
	s_delay_alu instid0(VALU_DEP_2) | instskip(SKIP_1) | instid1(VALU_DEP_1)
	v_cndmask_b32_e64 v1, v1, v3, s1
	s_mov_b32 s1, exec_lo
	v_add_f64_e32 v[3:4], v[9:10], v[1:2]
	s_delay_alu instid0(VALU_DEP_1) | instskip(NEXT) | instid1(VALU_DEP_2)
	v_cndmask_b32_e64 v2, v2, v4, s2
	v_cndmask_b32_e64 v1, v1, v3, s2
	s_delay_alu instid0(VALU_DEP_1) | instskip(NEXT) | instid1(VALU_DEP_1)
	v_add_f64_e32 v[3:4], v[11:12], v[1:2]
	v_cndmask_b32_e64 v2, v2, v4, s3
	s_delay_alu instid0(VALU_DEP_2) | instskip(NEXT) | instid1(VALU_DEP_1)
	v_cndmask_b32_e64 v1, v1, v3, s3
	v_add_f64_e32 v[3:4], v[13:14], v[1:2]
	s_delay_alu instid0(VALU_DEP_1) | instskip(NEXT) | instid1(VALU_DEP_2)
	v_cndmask_b32_e64 v2, v2, v4, s4
	v_cndmask_b32_e64 v1, v1, v3, s4
	s_delay_alu instid0(VALU_DEP_1) | instskip(NEXT) | instid1(VALU_DEP_1)
	v_add_f64_e32 v[3:4], v[15:16], v[1:2]
	v_cndmask_b32_e64 v2, v2, v4, s5
	s_delay_alu instid0(VALU_DEP_2) | instskip(NEXT) | instid1(VALU_DEP_1)
	v_cndmask_b32_e64 v1, v1, v3, s5
	;; [unrolled: 9-line block ×5, first 2 shown]
	v_add_f64_e32 v[3:4], v[29:30], v[1:2]
	s_delay_alu instid0(VALU_DEP_1) | instskip(NEXT) | instid1(VALU_DEP_2)
	v_cndmask_b32_e64 v2, v2, v4, s12
	v_cndmask_b32_e64 v1, v1, v3, s12
	s_delay_alu instid0(VALU_DEP_1) | instskip(NEXT) | instid1(VALU_DEP_1)
	v_add_f64_e32 v[3:4], v[31:32], v[1:2]
	v_cndmask_b32_e64 v1, v1, v3, s13
	s_delay_alu instid0(VALU_DEP_2) | instskip(SKIP_4) | instid1(VALU_DEP_1)
	v_cndmask_b32_e64 v2, v2, v4, s13
	ds_bpermute_b32 v3, v5, v1
	ds_bpermute_b32 v4, v5, v2
	v_and_b32_e32 v5, 0xe0, v0
	s_wait_alu 0xfffe
	v_sub_nc_u32_e64 v5, s0, v5 clamp
	s_delay_alu instid0(VALU_DEP_1)
	v_cmpx_lt_u32_e64 v6, v5
	s_cbranch_execz .LBB12_41
; %bb.40:
	s_wait_dscnt 0x0
	v_add_f64_e32 v[1:2], v[1:2], v[3:4]
.LBB12_41:
	s_or_b32 exec_lo, exec_lo, s1
	v_cmp_gt_u32_e32 vcc_lo, 30, v35
	v_add_nc_u32_e32 v6, 2, v35
	s_mov_b32 s1, exec_lo
	s_wait_dscnt 0x1
	s_wait_alu 0xfffd
	v_cndmask_b32_e64 v3, 0, 1, vcc_lo
	s_delay_alu instid0(VALU_DEP_1) | instskip(SKIP_1) | instid1(VALU_DEP_1)
	v_lshlrev_b32_e32 v3, 1, v3
	s_wait_dscnt 0x0
	v_add_lshl_u32 v4, v3, v35, 2
	ds_bpermute_b32 v3, v4, v1
	ds_bpermute_b32 v4, v4, v2
	v_cmpx_lt_u32_e64 v6, v5
	s_cbranch_execz .LBB12_43
; %bb.42:
	s_wait_dscnt 0x0
	v_add_f64_e32 v[1:2], v[1:2], v[3:4]
.LBB12_43:
	s_wait_alu 0xfffe
	s_or_b32 exec_lo, exec_lo, s1
	v_cmp_gt_u32_e32 vcc_lo, 28, v35
	v_add_nc_u32_e32 v6, 4, v35
	s_mov_b32 s1, exec_lo
	s_wait_dscnt 0x1
	s_wait_alu 0xfffd
	v_cndmask_b32_e64 v3, 0, 1, vcc_lo
	s_delay_alu instid0(VALU_DEP_1) | instskip(SKIP_1) | instid1(VALU_DEP_1)
	v_lshlrev_b32_e32 v3, 2, v3
	s_wait_dscnt 0x0
	v_add_lshl_u32 v4, v3, v35, 2
	ds_bpermute_b32 v3, v4, v1
	ds_bpermute_b32 v4, v4, v2
	v_cmpx_lt_u32_e64 v6, v5
	s_cbranch_execz .LBB12_45
; %bb.44:
	s_wait_dscnt 0x0
	v_add_f64_e32 v[1:2], v[1:2], v[3:4]
.LBB12_45:
	s_wait_alu 0xfffe
	;; [unrolled: 20-line block ×4, first 2 shown]
	s_or_b32 exec_lo, exec_lo, s1
	s_delay_alu instid0(SALU_CYCLE_1)
	s_mov_b32 s1, exec_lo
	v_cmpx_eq_u32_e32 0, v35
	s_cbranch_execz .LBB12_51
; %bb.50:
	s_wait_dscnt 0x1
	v_lshrrev_b32_e32 v3, 2, v0
	s_delay_alu instid0(VALU_DEP_1)
	v_and_b32_e32 v3, 56, v3
	ds_store_b64 v3, v[1:2] offset:64
.LBB12_51:
	s_wait_alu 0xfffe
	s_or_b32 exec_lo, exec_lo, s1
	s_delay_alu instid0(SALU_CYCLE_1)
	s_mov_b32 s1, exec_lo
	global_wb scope:SCOPE_SE
	s_wait_dscnt 0x0
	s_barrier_signal -1
	s_barrier_wait -1
	global_inv scope:SCOPE_SE
	v_cmpx_gt_u32_e32 8, v0
	s_cbranch_execz .LBB12_59
; %bb.52:
	v_lshlrev_b32_e32 v1, 3, v35
	v_and_b32_e32 v5, 7, v35
	s_add_co_i32 s0, s0, 31
	s_mov_b32 s2, exec_lo
	s_wait_alu 0xfffe
	s_lshr_b32 s0, s0, 5
	ds_load_b64 v[1:2], v1 offset:64
	v_cmp_ne_u32_e32 vcc_lo, 7, v5
	v_add_nc_u32_e32 v6, 1, v5
	s_wait_alu 0xfffd
	v_add_co_ci_u32_e32 v3, vcc_lo, 0, v35, vcc_lo
	s_delay_alu instid0(VALU_DEP_1)
	v_lshlrev_b32_e32 v4, 2, v3
	s_wait_dscnt 0x0
	ds_bpermute_b32 v3, v4, v1
	ds_bpermute_b32 v4, v4, v2
	s_wait_alu 0xfffe
	v_cmpx_gt_u32_e64 s0, v6
	s_cbranch_execz .LBB12_54
; %bb.53:
	s_wait_dscnt 0x0
	v_add_f64_e32 v[1:2], v[1:2], v[3:4]
.LBB12_54:
	s_or_b32 exec_lo, exec_lo, s2
	v_cmp_gt_u32_e32 vcc_lo, 6, v5
	v_add_nc_u32_e32 v6, 2, v5
	s_mov_b32 s2, exec_lo
	s_wait_dscnt 0x1
	s_wait_alu 0xfffd
	v_cndmask_b32_e64 v3, 0, 1, vcc_lo
	s_delay_alu instid0(VALU_DEP_1) | instskip(SKIP_1) | instid1(VALU_DEP_1)
	v_lshlrev_b32_e32 v3, 1, v3
	s_wait_dscnt 0x0
	v_add_lshl_u32 v4, v3, v35, 2
	ds_bpermute_b32 v3, v4, v1
	ds_bpermute_b32 v4, v4, v2
	v_cmpx_gt_u32_e64 s0, v6
	s_cbranch_execz .LBB12_56
; %bb.55:
	s_wait_dscnt 0x0
	v_add_f64_e32 v[1:2], v[1:2], v[3:4]
.LBB12_56:
	s_wait_alu 0xfffe
	s_or_b32 exec_lo, exec_lo, s2
	v_cmp_gt_u32_e32 vcc_lo, 4, v5
	v_add_nc_u32_e32 v5, 4, v5
	s_wait_dscnt 0x1
	s_wait_alu 0xfffd
	v_cndmask_b32_e64 v3, 0, 1, vcc_lo
	s_delay_alu instid0(VALU_DEP_2) | instskip(NEXT) | instid1(VALU_DEP_2)
	v_cmp_gt_u32_e32 vcc_lo, s0, v5
	v_lshlrev_b32_e32 v3, 2, v3
	s_wait_dscnt 0x0
	s_delay_alu instid0(VALU_DEP_1)
	v_add_lshl_u32 v4, v3, v35, 2
	ds_bpermute_b32 v3, v4, v1
	ds_bpermute_b32 v4, v4, v2
	s_and_saveexec_b32 s0, vcc_lo
	s_cbranch_execz .LBB12_58
; %bb.57:
	s_wait_dscnt 0x0
	v_add_f64_e32 v[1:2], v[1:2], v[3:4]
.LBB12_58:
	s_wait_alu 0xfffe
	s_or_b32 exec_lo, exec_lo, s0
.LBB12_59:
	s_wait_alu 0xfffe
	s_or_b32 exec_lo, exec_lo, s1
.LBB12_60:
	s_delay_alu instid0(SALU_CYCLE_1)
	s_mov_b32 s0, exec_lo
	v_cmpx_eq_u32_e32 0, v0
	s_cbranch_execz .LBB12_62
; %bb.61:
	s_delay_alu instid0(VALU_DEP_2)
	v_add_f64_e32 v[0:1], s[18:19], v[1:2]
	s_lshl_b64 s[0:1], s[20:21], 3
	s_cmp_eq_u64 s[14:15], 0
	v_mov_b32_e32 v2, 0
	s_cselect_b32 s2, -1, 0
	s_wait_alu 0xfffe
	s_add_nc_u64 s[0:1], s[16:17], s[0:1]
	s_delay_alu instid0(VALU_DEP_2) | instskip(NEXT) | instid1(VALU_DEP_3)
	v_cndmask_b32_e64 v1, v1, s19, s2
	v_cndmask_b32_e64 v0, v0, s18, s2
	global_store_b64 v2, v[0:1], s[0:1]
.LBB12_62:
	s_nop 0
	s_sendmsg sendmsg(MSG_DEALLOC_VGPRS)
	s_endpgm
	.section	.rodata,"a",@progbits
	.p2align	6, 0x0
	.amdhsa_kernel _ZN7rocprim6detail19block_reduce_kernelILb1ELb0ELj1ENS0_21wrapped_reduce_configINS_14default_configEdEEdPdS5_dN6thrust4plusIdEEEEvT4_mT5_T6_T7_
		.amdhsa_group_segment_fixed_size 128
		.amdhsa_private_segment_fixed_size 0
		.amdhsa_kernarg_size 36
		.amdhsa_user_sgpr_count 2
		.amdhsa_user_sgpr_dispatch_ptr 0
		.amdhsa_user_sgpr_queue_ptr 0
		.amdhsa_user_sgpr_kernarg_segment_ptr 1
		.amdhsa_user_sgpr_dispatch_id 0
		.amdhsa_user_sgpr_private_segment_size 0
		.amdhsa_wavefront_size32 1
		.amdhsa_uses_dynamic_stack 0
		.amdhsa_enable_private_segment 0
		.amdhsa_system_sgpr_workgroup_id_x 1
		.amdhsa_system_sgpr_workgroup_id_y 0
		.amdhsa_system_sgpr_workgroup_id_z 0
		.amdhsa_system_sgpr_workgroup_info 0
		.amdhsa_system_vgpr_workitem_id 0
		.amdhsa_next_free_vgpr 37
		.amdhsa_next_free_sgpr 24
		.amdhsa_reserve_vcc 1
		.amdhsa_float_round_mode_32 0
		.amdhsa_float_round_mode_16_64 0
		.amdhsa_float_denorm_mode_32 3
		.amdhsa_float_denorm_mode_16_64 3
		.amdhsa_fp16_overflow 0
		.amdhsa_workgroup_processor_mode 1
		.amdhsa_memory_ordered 1
		.amdhsa_forward_progress 0
		.amdhsa_round_robin_scheduling 0
		.amdhsa_exception_fp_ieee_invalid_op 0
		.amdhsa_exception_fp_denorm_src 0
		.amdhsa_exception_fp_ieee_div_zero 0
		.amdhsa_exception_fp_ieee_overflow 0
		.amdhsa_exception_fp_ieee_underflow 0
		.amdhsa_exception_fp_ieee_inexact 0
		.amdhsa_exception_int_div_zero 0
	.end_amdhsa_kernel
	.section	.text._ZN7rocprim6detail19block_reduce_kernelILb1ELb0ELj1ENS0_21wrapped_reduce_configINS_14default_configEdEEdPdS5_dN6thrust4plusIdEEEEvT4_mT5_T6_T7_,"axG",@progbits,_ZN7rocprim6detail19block_reduce_kernelILb1ELb0ELj1ENS0_21wrapped_reduce_configINS_14default_configEdEEdPdS5_dN6thrust4plusIdEEEEvT4_mT5_T6_T7_,comdat
.Lfunc_end12:
	.size	_ZN7rocprim6detail19block_reduce_kernelILb1ELb0ELj1ENS0_21wrapped_reduce_configINS_14default_configEdEEdPdS5_dN6thrust4plusIdEEEEvT4_mT5_T6_T7_, .Lfunc_end12-_ZN7rocprim6detail19block_reduce_kernelILb1ELb0ELj1ENS0_21wrapped_reduce_configINS_14default_configEdEEdPdS5_dN6thrust4plusIdEEEEvT4_mT5_T6_T7_
                                        ; -- End function
	.section	.AMDGPU.csdata,"",@progbits
; Kernel info:
; codeLenInByte = 2896
; NumSgprs: 26
; NumVgprs: 37
; ScratchSize: 0
; MemoryBound: 1
; FloatMode: 240
; IeeeMode: 1
; LDSByteSize: 128 bytes/workgroup (compile time only)
; SGPRBlocks: 3
; VGPRBlocks: 4
; NumSGPRsForWavesPerEU: 26
; NumVGPRsForWavesPerEU: 37
; Occupancy: 16
; WaveLimiterHint : 1
; COMPUTE_PGM_RSRC2:SCRATCH_EN: 0
; COMPUTE_PGM_RSRC2:USER_SGPR: 2
; COMPUTE_PGM_RSRC2:TRAP_HANDLER: 0
; COMPUTE_PGM_RSRC2:TGID_X_EN: 1
; COMPUTE_PGM_RSRC2:TGID_Y_EN: 0
; COMPUTE_PGM_RSRC2:TGID_Z_EN: 0
; COMPUTE_PGM_RSRC2:TIDIG_COMP_CNT: 0
	.section	.text._ZN7rocprim6detail19block_reduce_kernelILb0ELb1ELj1ENS0_21wrapped_reduce_configINS_14default_configEdEEdN6thrust11hip_rocprim26transform_input_iterator_tIdNS5_6detail15normal_iteratorINS5_10device_ptrIdEEEEZ4mainEUldE_EEPddNS5_4plusIdEEEEvT4_mT5_T6_T7_,"axG",@progbits,_ZN7rocprim6detail19block_reduce_kernelILb0ELb1ELj1ENS0_21wrapped_reduce_configINS_14default_configEdEEdN6thrust11hip_rocprim26transform_input_iterator_tIdNS5_6detail15normal_iteratorINS5_10device_ptrIdEEEEZ4mainEUldE_EEPddNS5_4plusIdEEEEvT4_mT5_T6_T7_,comdat
	.globl	_ZN7rocprim6detail19block_reduce_kernelILb0ELb1ELj1ENS0_21wrapped_reduce_configINS_14default_configEdEEdN6thrust11hip_rocprim26transform_input_iterator_tIdNS5_6detail15normal_iteratorINS5_10device_ptrIdEEEEZ4mainEUldE_EEPddNS5_4plusIdEEEEvT4_mT5_T6_T7_ ; -- Begin function _ZN7rocprim6detail19block_reduce_kernelILb0ELb1ELj1ENS0_21wrapped_reduce_configINS_14default_configEdEEdN6thrust11hip_rocprim26transform_input_iterator_tIdNS5_6detail15normal_iteratorINS5_10device_ptrIdEEEEZ4mainEUldE_EEPddNS5_4plusIdEEEEvT4_mT5_T6_T7_
	.p2align	8
	.type	_ZN7rocprim6detail19block_reduce_kernelILb0ELb1ELj1ENS0_21wrapped_reduce_configINS_14default_configEdEEdN6thrust11hip_rocprim26transform_input_iterator_tIdNS5_6detail15normal_iteratorINS5_10device_ptrIdEEEEZ4mainEUldE_EEPddNS5_4plusIdEEEEvT4_mT5_T6_T7_,@function
_ZN7rocprim6detail19block_reduce_kernelILb0ELb1ELj1ENS0_21wrapped_reduce_configINS_14default_configEdEEdN6thrust11hip_rocprim26transform_input_iterator_tIdNS5_6detail15normal_iteratorINS5_10device_ptrIdEEEEZ4mainEUldE_EEPddNS5_4plusIdEEEEvT4_mT5_T6_T7_: ; @_ZN7rocprim6detail19block_reduce_kernelILb0ELb1ELj1ENS0_21wrapped_reduce_configINS_14default_configEdEEdN6thrust11hip_rocprim26transform_input_iterator_tIdNS5_6detail15normal_iteratorINS5_10device_ptrIdEEEEZ4mainEUldE_EEPddNS5_4plusIdEEEEvT4_mT5_T6_T7_
; %bb.0:
	s_clause 0x2
	s_load_b128 s[16:19], s[0:1], 0x10
	s_load_b64 s[2:3], s[0:1], 0x0
	s_load_b64 s[14:15], s[0:1], 0x20
	s_mov_b32 s1, 0
	s_lshl_b32 s0, ttmp9, 12
	v_lshlrev_b32_e32 v1, 3, v0
	s_lshl_b64 s[4:5], s[0:1], 3
	s_mov_b32 s21, s1
	v_mbcnt_lo_u32_b32 v35, -1, 0
	s_mov_b32 s20, ttmp9
	s_wait_kmcnt 0x0
	s_lshr_b64 s[6:7], s[16:17], 12
	s_add_nc_u64 s[2:3], s[2:3], s[4:5]
	s_cmp_lg_u64 s[6:7], s[20:21]
	v_add_co_u32 v33, s1, s2, v1
	s_delay_alu instid0(VALU_DEP_1)
	v_add_co_ci_u32_e64 v34, null, s3, 0, s1
	s_cbranch_scc0 .LBB13_6
; %bb.1:
	s_clause 0x9
	global_load_b64 v[1:2], v[33:34], off
	global_load_b64 v[3:4], v[33:34], off offset:2048
	global_load_b64 v[5:6], v[33:34], off offset:4096
	;; [unrolled: 1-line block ×9, first 2 shown]
	s_mov_b32 s1, exec_lo
	s_wait_loadcnt 0x8
	v_add_f64_e64 v[1:2], |v[1:2]|, |v[3:4]|
	global_load_b64 v[3:4], v[33:34], off offset:20480
	s_wait_loadcnt 0x8
	v_add_f64_e64 v[1:2], v[1:2], |v[5:6]|
	global_load_b64 v[5:6], v[33:34], off offset:22528
	s_wait_loadcnt 0x8
	v_add_f64_e64 v[1:2], v[1:2], |v[7:8]|
	;; [unrolled: 3-line block ×6, first 2 shown]
	s_wait_loadcnt 0x7
	s_delay_alu instid0(VALU_DEP_1) | instskip(SKIP_1) | instid1(VALU_DEP_1)
	v_add_f64_e64 v[1:2], v[1:2], |v[17:18]|
	s_wait_loadcnt 0x6
	v_add_f64_e64 v[1:2], v[1:2], |v[19:20]|
	s_wait_loadcnt 0x5
	s_delay_alu instid0(VALU_DEP_1) | instskip(SKIP_1) | instid1(VALU_DEP_1)
	v_add_f64_e64 v[1:2], v[1:2], |v[3:4]|
	s_wait_loadcnt 0x4
	v_add_f64_e64 v[1:2], v[1:2], |v[5:6]|
	;; [unrolled: 5-line block ×4, first 2 shown]
	s_delay_alu instid0(VALU_DEP_1) | instskip(NEXT) | instid1(VALU_DEP_2)
	v_mov_b32_dpp v3, v1 quad_perm:[1,0,3,2] row_mask:0xf bank_mask:0xf
	v_mov_b32_dpp v4, v2 quad_perm:[1,0,3,2] row_mask:0xf bank_mask:0xf
	s_delay_alu instid0(VALU_DEP_1) | instskip(NEXT) | instid1(VALU_DEP_1)
	v_add_f64_e32 v[1:2], v[1:2], v[3:4]
	v_mov_b32_dpp v3, v1 quad_perm:[2,3,0,1] row_mask:0xf bank_mask:0xf
	s_delay_alu instid0(VALU_DEP_2) | instskip(NEXT) | instid1(VALU_DEP_1)
	v_mov_b32_dpp v4, v2 quad_perm:[2,3,0,1] row_mask:0xf bank_mask:0xf
	v_add_f64_e32 v[1:2], v[1:2], v[3:4]
	s_delay_alu instid0(VALU_DEP_1) | instskip(NEXT) | instid1(VALU_DEP_2)
	v_mov_b32_dpp v3, v1 row_ror:4 row_mask:0xf bank_mask:0xf
	v_mov_b32_dpp v4, v2 row_ror:4 row_mask:0xf bank_mask:0xf
	s_delay_alu instid0(VALU_DEP_1) | instskip(NEXT) | instid1(VALU_DEP_1)
	v_add_f64_e32 v[1:2], v[1:2], v[3:4]
	v_mov_b32_dpp v3, v1 row_ror:8 row_mask:0xf bank_mask:0xf
	s_delay_alu instid0(VALU_DEP_2) | instskip(NEXT) | instid1(VALU_DEP_1)
	v_mov_b32_dpp v4, v2 row_ror:8 row_mask:0xf bank_mask:0xf
	v_add_f64_e32 v[1:2], v[1:2], v[3:4]
	ds_swizzle_b32 v3, v1 offset:swizzle(BROADCAST,32,15)
	ds_swizzle_b32 v4, v2 offset:swizzle(BROADCAST,32,15)
	s_wait_dscnt 0x0
	v_add_f64_e32 v[1:2], v[1:2], v[3:4]
	v_mov_b32_e32 v3, 0
	ds_bpermute_b32 v1, v3, v1 offset:124
	ds_bpermute_b32 v2, v3, v2 offset:124
	v_cmpx_eq_u32_e32 0, v35
	s_cbranch_execz .LBB13_3
; %bb.2:
	v_lshrrev_b32_e32 v3, 2, v0
	s_delay_alu instid0(VALU_DEP_1)
	v_and_b32_e32 v3, 56, v3
	s_wait_dscnt 0x0
	ds_store_b64 v3, v[1:2]
.LBB13_3:
	s_wait_alu 0xfffe
	s_or_b32 exec_lo, exec_lo, s1
	s_delay_alu instid0(SALU_CYCLE_1)
	s_mov_b32 s1, exec_lo
	global_wb scope:SCOPE_SE
	s_wait_dscnt 0x0
	s_barrier_signal -1
	s_barrier_wait -1
	global_inv scope:SCOPE_SE
	v_cmpx_gt_u32_e32 32, v0
	s_cbranch_execz .LBB13_5
; %bb.4:
	v_and_b32_e32 v5, 7, v35
	s_delay_alu instid0(VALU_DEP_1) | instskip(SKIP_4) | instid1(VALU_DEP_2)
	v_lshlrev_b32_e32 v1, 3, v5
	v_cmp_ne_u32_e32 vcc_lo, 7, v5
	ds_load_b64 v[1:2], v1
	v_add_co_ci_u32_e32 v3, vcc_lo, 0, v35, vcc_lo
	v_cmp_gt_u32_e32 vcc_lo, 6, v5
	v_lshlrev_b32_e32 v4, 2, v3
	s_wait_dscnt 0x0
	ds_bpermute_b32 v3, v4, v1
	ds_bpermute_b32 v4, v4, v2
	s_wait_dscnt 0x0
	v_add_f64_e32 v[1:2], v[1:2], v[3:4]
	s_wait_alu 0xfffd
	v_cndmask_b32_e64 v3, 0, 1, vcc_lo
	v_cmp_gt_u32_e32 vcc_lo, 4, v5
	s_delay_alu instid0(VALU_DEP_2) | instskip(NEXT) | instid1(VALU_DEP_1)
	v_lshlrev_b32_e32 v3, 1, v3
	v_add_lshl_u32 v4, v3, v35, 2
	ds_bpermute_b32 v3, v4, v1
	ds_bpermute_b32 v4, v4, v2
	s_wait_dscnt 0x0
	v_add_f64_e32 v[1:2], v[1:2], v[3:4]
	s_wait_alu 0xfffd
	v_cndmask_b32_e64 v3, 0, 1, vcc_lo
	s_delay_alu instid0(VALU_DEP_1) | instskip(NEXT) | instid1(VALU_DEP_1)
	v_lshlrev_b32_e32 v3, 2, v3
	v_add_lshl_u32 v4, v3, v35, 2
	ds_bpermute_b32 v3, v4, v1
	ds_bpermute_b32 v4, v4, v2
	s_wait_dscnt 0x0
	v_add_f64_e32 v[1:2], v[1:2], v[3:4]
.LBB13_5:
	s_wait_alu 0xfffe
	s_or_b32 exec_lo, exec_lo, s1
	s_branch .LBB13_60
.LBB13_6:
                                        ; implicit-def: $vgpr1_vgpr2
	s_cbranch_execz .LBB13_60
; %bb.7:
	s_sub_co_i32 s22, s16, s0
	s_mov_b32 s0, exec_lo
                                        ; implicit-def: $vgpr1_vgpr2_vgpr3_vgpr4_vgpr5_vgpr6_vgpr7_vgpr8_vgpr9_vgpr10_vgpr11_vgpr12_vgpr13_vgpr14_vgpr15_vgpr16_vgpr17_vgpr18_vgpr19_vgpr20_vgpr21_vgpr22_vgpr23_vgpr24_vgpr25_vgpr26_vgpr27_vgpr28_vgpr29_vgpr30_vgpr31_vgpr32
	v_cmpx_gt_u32_e64 s22, v0
	s_cbranch_execz .LBB13_9
; %bb.8:
	global_load_b64 v[1:2], v[33:34], off
	s_wait_loadcnt 0x0
	v_and_b32_e32 v2, 0x7fffffff, v2
.LBB13_9:
	s_wait_alu 0xfffe
	s_or_b32 exec_lo, exec_lo, s0
	v_or_b32_e32 v36, 0x100, v0
	s_delay_alu instid0(VALU_DEP_1)
	v_cmp_gt_u32_e32 vcc_lo, s22, v36
	s_and_saveexec_b32 s0, vcc_lo
	s_cbranch_execz .LBB13_11
; %bb.10:
	global_load_b64 v[3:4], v[33:34], off offset:2048
	s_wait_loadcnt 0x0
	v_and_b32_e32 v4, 0x7fffffff, v4
.LBB13_11:
	s_wait_alu 0xfffe
	s_or_b32 exec_lo, exec_lo, s0
	v_or_b32_e32 v36, 0x200, v0
	s_delay_alu instid0(VALU_DEP_1) | instskip(NEXT) | instid1(VALU_DEP_1)
	v_cmp_gt_u32_e64 s0, s22, v36
	s_and_saveexec_b32 s1, s0
	s_cbranch_execz .LBB13_13
; %bb.12:
	global_load_b64 v[5:6], v[33:34], off offset:4096
	s_wait_loadcnt 0x0
	v_and_b32_e32 v6, 0x7fffffff, v6
.LBB13_13:
	s_wait_alu 0xfffe
	s_or_b32 exec_lo, exec_lo, s1
	v_or_b32_e32 v36, 0x300, v0
	s_delay_alu instid0(VALU_DEP_1) | instskip(NEXT) | instid1(VALU_DEP_1)
	v_cmp_gt_u32_e64 s1, s22, v36
	s_and_saveexec_b32 s2, s1
	s_cbranch_execz .LBB13_15
; %bb.14:
	global_load_b64 v[7:8], v[33:34], off offset:6144
	s_wait_loadcnt 0x0
	v_and_b32_e32 v8, 0x7fffffff, v8
.LBB13_15:
	s_wait_alu 0xfffe
	s_or_b32 exec_lo, exec_lo, s2
	v_or_b32_e32 v36, 0x400, v0
	s_delay_alu instid0(VALU_DEP_1) | instskip(NEXT) | instid1(VALU_DEP_1)
	v_cmp_gt_u32_e64 s2, s22, v36
	s_and_saveexec_b32 s3, s2
	s_cbranch_execz .LBB13_17
; %bb.16:
	global_load_b64 v[9:10], v[33:34], off offset:8192
	s_wait_loadcnt 0x0
	v_and_b32_e32 v10, 0x7fffffff, v10
.LBB13_17:
	s_wait_alu 0xfffe
	s_or_b32 exec_lo, exec_lo, s3
	v_or_b32_e32 v36, 0x500, v0
	s_delay_alu instid0(VALU_DEP_1) | instskip(NEXT) | instid1(VALU_DEP_1)
	v_cmp_gt_u32_e64 s3, s22, v36
	s_and_saveexec_b32 s4, s3
	s_cbranch_execz .LBB13_19
; %bb.18:
	global_load_b64 v[11:12], v[33:34], off offset:10240
	s_wait_loadcnt 0x0
	v_and_b32_e32 v12, 0x7fffffff, v12
.LBB13_19:
	s_or_b32 exec_lo, exec_lo, s4
	v_or_b32_e32 v36, 0x600, v0
	s_delay_alu instid0(VALU_DEP_1) | instskip(NEXT) | instid1(VALU_DEP_1)
	v_cmp_gt_u32_e64 s4, s22, v36
	s_and_saveexec_b32 s5, s4
	s_cbranch_execz .LBB13_21
; %bb.20:
	global_load_b64 v[13:14], v[33:34], off offset:12288
	s_wait_loadcnt 0x0
	v_and_b32_e32 v14, 0x7fffffff, v14
.LBB13_21:
	s_or_b32 exec_lo, exec_lo, s5
	v_or_b32_e32 v36, 0x700, v0
	s_delay_alu instid0(VALU_DEP_1) | instskip(NEXT) | instid1(VALU_DEP_1)
	v_cmp_gt_u32_e64 s5, s22, v36
	s_and_saveexec_b32 s6, s5
	;; [unrolled: 11-line block ×10, first 2 shown]
	s_cbranch_execz .LBB13_39
; %bb.38:
	global_load_b64 v[31:32], v[33:34], off offset:30720
	s_wait_loadcnt 0x0
	v_and_b32_e32 v32, 0x7fffffff, v32
.LBB13_39:
	s_wait_alu 0xfffe
	s_or_b32 exec_lo, exec_lo, s23
	v_add_f64_e32 v[3:4], v[1:2], v[3:4]
	s_delay_alu instid0(VALU_DEP_1) | instskip(SKIP_1) | instid1(VALU_DEP_2)
	v_dual_cndmask_b32 v2, v2, v4 :: v_dual_cndmask_b32 v1, v1, v3
	v_cmp_ne_u32_e32 vcc_lo, 31, v35
	v_add_f64_e32 v[3:4], v[5:6], v[1:2]
	s_wait_alu 0xfffd
	v_add_co_ci_u32_e32 v5, vcc_lo, 0, v35, vcc_lo
	v_add_nc_u32_e32 v6, 1, v35
	s_delay_alu instid0(VALU_DEP_2) | instskip(NEXT) | instid1(VALU_DEP_4)
	v_lshlrev_b32_e32 v5, 2, v5
	v_cndmask_b32_e64 v2, v2, v4, s0
	v_cndmask_b32_e64 v1, v1, v3, s0
	s_min_u32 s0, s22, 0x100
	s_delay_alu instid0(VALU_DEP_1) | instskip(NEXT) | instid1(VALU_DEP_1)
	v_add_f64_e32 v[3:4], v[7:8], v[1:2]
	v_cndmask_b32_e64 v2, v2, v4, s1
	s_delay_alu instid0(VALU_DEP_2) | instskip(SKIP_1) | instid1(VALU_DEP_1)
	v_cndmask_b32_e64 v1, v1, v3, s1
	s_mov_b32 s1, exec_lo
	v_add_f64_e32 v[3:4], v[9:10], v[1:2]
	s_delay_alu instid0(VALU_DEP_1) | instskip(NEXT) | instid1(VALU_DEP_2)
	v_cndmask_b32_e64 v2, v2, v4, s2
	v_cndmask_b32_e64 v1, v1, v3, s2
	s_delay_alu instid0(VALU_DEP_1) | instskip(NEXT) | instid1(VALU_DEP_1)
	v_add_f64_e32 v[3:4], v[11:12], v[1:2]
	v_cndmask_b32_e64 v2, v2, v4, s3
	s_delay_alu instid0(VALU_DEP_2) | instskip(NEXT) | instid1(VALU_DEP_1)
	v_cndmask_b32_e64 v1, v1, v3, s3
	v_add_f64_e32 v[3:4], v[13:14], v[1:2]
	s_delay_alu instid0(VALU_DEP_1) | instskip(NEXT) | instid1(VALU_DEP_2)
	v_cndmask_b32_e64 v2, v2, v4, s4
	v_cndmask_b32_e64 v1, v1, v3, s4
	s_delay_alu instid0(VALU_DEP_1) | instskip(NEXT) | instid1(VALU_DEP_1)
	v_add_f64_e32 v[3:4], v[15:16], v[1:2]
	v_cndmask_b32_e64 v2, v2, v4, s5
	s_delay_alu instid0(VALU_DEP_2) | instskip(NEXT) | instid1(VALU_DEP_1)
	v_cndmask_b32_e64 v1, v1, v3, s5
	;; [unrolled: 9-line block ×5, first 2 shown]
	v_add_f64_e32 v[3:4], v[29:30], v[1:2]
	s_delay_alu instid0(VALU_DEP_1) | instskip(NEXT) | instid1(VALU_DEP_2)
	v_cndmask_b32_e64 v2, v2, v4, s12
	v_cndmask_b32_e64 v1, v1, v3, s12
	s_delay_alu instid0(VALU_DEP_1) | instskip(NEXT) | instid1(VALU_DEP_1)
	v_add_f64_e32 v[3:4], v[31:32], v[1:2]
	v_cndmask_b32_e64 v1, v1, v3, s13
	s_delay_alu instid0(VALU_DEP_2) | instskip(SKIP_4) | instid1(VALU_DEP_1)
	v_cndmask_b32_e64 v2, v2, v4, s13
	ds_bpermute_b32 v3, v5, v1
	ds_bpermute_b32 v4, v5, v2
	v_and_b32_e32 v5, 0xe0, v0
	s_wait_alu 0xfffe
	v_sub_nc_u32_e64 v5, s0, v5 clamp
	s_delay_alu instid0(VALU_DEP_1)
	v_cmpx_lt_u32_e64 v6, v5
	s_cbranch_execz .LBB13_41
; %bb.40:
	s_wait_dscnt 0x0
	v_add_f64_e32 v[1:2], v[1:2], v[3:4]
.LBB13_41:
	s_or_b32 exec_lo, exec_lo, s1
	v_cmp_gt_u32_e32 vcc_lo, 30, v35
	v_add_nc_u32_e32 v6, 2, v35
	s_mov_b32 s1, exec_lo
	s_wait_dscnt 0x1
	s_wait_alu 0xfffd
	v_cndmask_b32_e64 v3, 0, 1, vcc_lo
	s_delay_alu instid0(VALU_DEP_1) | instskip(SKIP_1) | instid1(VALU_DEP_1)
	v_lshlrev_b32_e32 v3, 1, v3
	s_wait_dscnt 0x0
	v_add_lshl_u32 v4, v3, v35, 2
	ds_bpermute_b32 v3, v4, v1
	ds_bpermute_b32 v4, v4, v2
	v_cmpx_lt_u32_e64 v6, v5
	s_cbranch_execz .LBB13_43
; %bb.42:
	s_wait_dscnt 0x0
	v_add_f64_e32 v[1:2], v[1:2], v[3:4]
.LBB13_43:
	s_wait_alu 0xfffe
	s_or_b32 exec_lo, exec_lo, s1
	v_cmp_gt_u32_e32 vcc_lo, 28, v35
	v_add_nc_u32_e32 v6, 4, v35
	s_mov_b32 s1, exec_lo
	s_wait_dscnt 0x1
	s_wait_alu 0xfffd
	v_cndmask_b32_e64 v3, 0, 1, vcc_lo
	s_delay_alu instid0(VALU_DEP_1) | instskip(SKIP_1) | instid1(VALU_DEP_1)
	v_lshlrev_b32_e32 v3, 2, v3
	s_wait_dscnt 0x0
	v_add_lshl_u32 v4, v3, v35, 2
	ds_bpermute_b32 v3, v4, v1
	ds_bpermute_b32 v4, v4, v2
	v_cmpx_lt_u32_e64 v6, v5
	s_cbranch_execz .LBB13_45
; %bb.44:
	s_wait_dscnt 0x0
	v_add_f64_e32 v[1:2], v[1:2], v[3:4]
.LBB13_45:
	s_wait_alu 0xfffe
	;; [unrolled: 20-line block ×4, first 2 shown]
	s_or_b32 exec_lo, exec_lo, s1
	s_delay_alu instid0(SALU_CYCLE_1)
	s_mov_b32 s1, exec_lo
	v_cmpx_eq_u32_e32 0, v35
	s_cbranch_execz .LBB13_51
; %bb.50:
	s_wait_dscnt 0x1
	v_lshrrev_b32_e32 v3, 2, v0
	s_delay_alu instid0(VALU_DEP_1)
	v_and_b32_e32 v3, 56, v3
	ds_store_b64 v3, v[1:2] offset:64
.LBB13_51:
	s_wait_alu 0xfffe
	s_or_b32 exec_lo, exec_lo, s1
	s_delay_alu instid0(SALU_CYCLE_1)
	s_mov_b32 s1, exec_lo
	global_wb scope:SCOPE_SE
	s_wait_dscnt 0x0
	s_barrier_signal -1
	s_barrier_wait -1
	global_inv scope:SCOPE_SE
	v_cmpx_gt_u32_e32 8, v0
	s_cbranch_execz .LBB13_59
; %bb.52:
	v_lshlrev_b32_e32 v1, 3, v35
	v_and_b32_e32 v5, 7, v35
	s_add_co_i32 s0, s0, 31
	s_mov_b32 s2, exec_lo
	s_wait_alu 0xfffe
	s_lshr_b32 s0, s0, 5
	ds_load_b64 v[1:2], v1 offset:64
	v_cmp_ne_u32_e32 vcc_lo, 7, v5
	v_add_nc_u32_e32 v6, 1, v5
	s_wait_alu 0xfffd
	v_add_co_ci_u32_e32 v3, vcc_lo, 0, v35, vcc_lo
	s_delay_alu instid0(VALU_DEP_1)
	v_lshlrev_b32_e32 v4, 2, v3
	s_wait_dscnt 0x0
	ds_bpermute_b32 v3, v4, v1
	ds_bpermute_b32 v4, v4, v2
	s_wait_alu 0xfffe
	v_cmpx_gt_u32_e64 s0, v6
	s_cbranch_execz .LBB13_54
; %bb.53:
	s_wait_dscnt 0x0
	v_add_f64_e32 v[1:2], v[1:2], v[3:4]
.LBB13_54:
	s_or_b32 exec_lo, exec_lo, s2
	v_cmp_gt_u32_e32 vcc_lo, 6, v5
	v_add_nc_u32_e32 v6, 2, v5
	s_mov_b32 s2, exec_lo
	s_wait_dscnt 0x1
	s_wait_alu 0xfffd
	v_cndmask_b32_e64 v3, 0, 1, vcc_lo
	s_delay_alu instid0(VALU_DEP_1) | instskip(SKIP_1) | instid1(VALU_DEP_1)
	v_lshlrev_b32_e32 v3, 1, v3
	s_wait_dscnt 0x0
	v_add_lshl_u32 v4, v3, v35, 2
	ds_bpermute_b32 v3, v4, v1
	ds_bpermute_b32 v4, v4, v2
	v_cmpx_gt_u32_e64 s0, v6
	s_cbranch_execz .LBB13_56
; %bb.55:
	s_wait_dscnt 0x0
	v_add_f64_e32 v[1:2], v[1:2], v[3:4]
.LBB13_56:
	s_wait_alu 0xfffe
	s_or_b32 exec_lo, exec_lo, s2
	v_cmp_gt_u32_e32 vcc_lo, 4, v5
	v_add_nc_u32_e32 v5, 4, v5
	s_wait_dscnt 0x1
	s_wait_alu 0xfffd
	v_cndmask_b32_e64 v3, 0, 1, vcc_lo
	s_delay_alu instid0(VALU_DEP_2) | instskip(NEXT) | instid1(VALU_DEP_2)
	v_cmp_gt_u32_e32 vcc_lo, s0, v5
	v_lshlrev_b32_e32 v3, 2, v3
	s_wait_dscnt 0x0
	s_delay_alu instid0(VALU_DEP_1)
	v_add_lshl_u32 v4, v3, v35, 2
	ds_bpermute_b32 v3, v4, v1
	ds_bpermute_b32 v4, v4, v2
	s_and_saveexec_b32 s0, vcc_lo
	s_cbranch_execz .LBB13_58
; %bb.57:
	s_wait_dscnt 0x0
	v_add_f64_e32 v[1:2], v[1:2], v[3:4]
.LBB13_58:
	s_wait_alu 0xfffe
	s_or_b32 exec_lo, exec_lo, s0
.LBB13_59:
	s_wait_alu 0xfffe
	s_or_b32 exec_lo, exec_lo, s1
.LBB13_60:
	s_delay_alu instid0(SALU_CYCLE_1)
	s_mov_b32 s0, exec_lo
	v_cmpx_eq_u32_e32 0, v0
	s_cbranch_execz .LBB13_62
; %bb.61:
	s_lshl_b64 s[0:1], s[20:21], 3
	s_cmp_eq_u64 s[16:17], 0
	v_mov_b32_e32 v0, 0
	s_cselect_b32 s2, -1, 0
	s_wait_alu 0xfffe
	s_add_nc_u64 s[0:1], s[18:19], s[0:1]
	s_delay_alu instid0(VALU_DEP_3) | instskip(NEXT) | instid1(VALU_DEP_4)
	v_cndmask_b32_e64 v2, v2, s15, s2
	v_cndmask_b32_e64 v1, v1, s14, s2
	global_store_b64 v0, v[1:2], s[0:1]
.LBB13_62:
	s_nop 0
	s_sendmsg sendmsg(MSG_DEALLOC_VGPRS)
	s_endpgm
	.section	.rodata,"a",@progbits
	.p2align	6, 0x0
	.amdhsa_kernel _ZN7rocprim6detail19block_reduce_kernelILb0ELb1ELj1ENS0_21wrapped_reduce_configINS_14default_configEdEEdN6thrust11hip_rocprim26transform_input_iterator_tIdNS5_6detail15normal_iteratorINS5_10device_ptrIdEEEEZ4mainEUldE_EEPddNS5_4plusIdEEEEvT4_mT5_T6_T7_
		.amdhsa_group_segment_fixed_size 128
		.amdhsa_private_segment_fixed_size 0
		.amdhsa_kernarg_size 44
		.amdhsa_user_sgpr_count 2
		.amdhsa_user_sgpr_dispatch_ptr 0
		.amdhsa_user_sgpr_queue_ptr 0
		.amdhsa_user_sgpr_kernarg_segment_ptr 1
		.amdhsa_user_sgpr_dispatch_id 0
		.amdhsa_user_sgpr_private_segment_size 0
		.amdhsa_wavefront_size32 1
		.amdhsa_uses_dynamic_stack 0
		.amdhsa_enable_private_segment 0
		.amdhsa_system_sgpr_workgroup_id_x 1
		.amdhsa_system_sgpr_workgroup_id_y 0
		.amdhsa_system_sgpr_workgroup_id_z 0
		.amdhsa_system_sgpr_workgroup_info 0
		.amdhsa_system_vgpr_workitem_id 0
		.amdhsa_next_free_vgpr 37
		.amdhsa_next_free_sgpr 24
		.amdhsa_reserve_vcc 1
		.amdhsa_float_round_mode_32 0
		.amdhsa_float_round_mode_16_64 0
		.amdhsa_float_denorm_mode_32 3
		.amdhsa_float_denorm_mode_16_64 3
		.amdhsa_fp16_overflow 0
		.amdhsa_workgroup_processor_mode 1
		.amdhsa_memory_ordered 1
		.amdhsa_forward_progress 0
		.amdhsa_round_robin_scheduling 0
		.amdhsa_exception_fp_ieee_invalid_op 0
		.amdhsa_exception_fp_denorm_src 0
		.amdhsa_exception_fp_ieee_div_zero 0
		.amdhsa_exception_fp_ieee_overflow 0
		.amdhsa_exception_fp_ieee_underflow 0
		.amdhsa_exception_fp_ieee_inexact 0
		.amdhsa_exception_int_div_zero 0
	.end_amdhsa_kernel
	.section	.text._ZN7rocprim6detail19block_reduce_kernelILb0ELb1ELj1ENS0_21wrapped_reduce_configINS_14default_configEdEEdN6thrust11hip_rocprim26transform_input_iterator_tIdNS5_6detail15normal_iteratorINS5_10device_ptrIdEEEEZ4mainEUldE_EEPddNS5_4plusIdEEEEvT4_mT5_T6_T7_,"axG",@progbits,_ZN7rocprim6detail19block_reduce_kernelILb0ELb1ELj1ENS0_21wrapped_reduce_configINS_14default_configEdEEdN6thrust11hip_rocprim26transform_input_iterator_tIdNS5_6detail15normal_iteratorINS5_10device_ptrIdEEEEZ4mainEUldE_EEPddNS5_4plusIdEEEEvT4_mT5_T6_T7_,comdat
.Lfunc_end13:
	.size	_ZN7rocprim6detail19block_reduce_kernelILb0ELb1ELj1ENS0_21wrapped_reduce_configINS_14default_configEdEEdN6thrust11hip_rocprim26transform_input_iterator_tIdNS5_6detail15normal_iteratorINS5_10device_ptrIdEEEEZ4mainEUldE_EEPddNS5_4plusIdEEEEvT4_mT5_T6_T7_, .Lfunc_end13-_ZN7rocprim6detail19block_reduce_kernelILb0ELb1ELj1ENS0_21wrapped_reduce_configINS_14default_configEdEEdN6thrust11hip_rocprim26transform_input_iterator_tIdNS5_6detail15normal_iteratorINS5_10device_ptrIdEEEEZ4mainEUldE_EEPddNS5_4plusIdEEEEvT4_mT5_T6_T7_
                                        ; -- End function
	.section	.AMDGPU.csdata,"",@progbits
; Kernel info:
; codeLenInByte = 3156
; NumSgprs: 26
; NumVgprs: 37
; ScratchSize: 0
; MemoryBound: 0
; FloatMode: 240
; IeeeMode: 1
; LDSByteSize: 128 bytes/workgroup (compile time only)
; SGPRBlocks: 3
; VGPRBlocks: 4
; NumSGPRsForWavesPerEU: 26
; NumVGPRsForWavesPerEU: 37
; Occupancy: 16
; WaveLimiterHint : 1
; COMPUTE_PGM_RSRC2:SCRATCH_EN: 0
; COMPUTE_PGM_RSRC2:USER_SGPR: 2
; COMPUTE_PGM_RSRC2:TRAP_HANDLER: 0
; COMPUTE_PGM_RSRC2:TGID_X_EN: 1
; COMPUTE_PGM_RSRC2:TGID_Y_EN: 0
; COMPUTE_PGM_RSRC2:TGID_Z_EN: 0
; COMPUTE_PGM_RSRC2:TIDIG_COMP_CNT: 0
	.section	.text._ZN7rocprim6detail19block_reduce_kernelILb1ELb1ELj2ENS0_21wrapped_reduce_configINS_14default_configEdEEdN6thrust11hip_rocprim26transform_input_iterator_tIdNS5_6detail15normal_iteratorINS5_10device_ptrIdEEEEZ4mainEUldE_EEPddNS5_4plusIdEEEEvT4_mT5_T6_T7_,"axG",@progbits,_ZN7rocprim6detail19block_reduce_kernelILb1ELb1ELj2ENS0_21wrapped_reduce_configINS_14default_configEdEEdN6thrust11hip_rocprim26transform_input_iterator_tIdNS5_6detail15normal_iteratorINS5_10device_ptrIdEEEEZ4mainEUldE_EEPddNS5_4plusIdEEEEvT4_mT5_T6_T7_,comdat
	.globl	_ZN7rocprim6detail19block_reduce_kernelILb1ELb1ELj2ENS0_21wrapped_reduce_configINS_14default_configEdEEdN6thrust11hip_rocprim26transform_input_iterator_tIdNS5_6detail15normal_iteratorINS5_10device_ptrIdEEEEZ4mainEUldE_EEPddNS5_4plusIdEEEEvT4_mT5_T6_T7_ ; -- Begin function _ZN7rocprim6detail19block_reduce_kernelILb1ELb1ELj2ENS0_21wrapped_reduce_configINS_14default_configEdEEdN6thrust11hip_rocprim26transform_input_iterator_tIdNS5_6detail15normal_iteratorINS5_10device_ptrIdEEEEZ4mainEUldE_EEPddNS5_4plusIdEEEEvT4_mT5_T6_T7_
	.p2align	8
	.type	_ZN7rocprim6detail19block_reduce_kernelILb1ELb1ELj2ENS0_21wrapped_reduce_configINS_14default_configEdEEdN6thrust11hip_rocprim26transform_input_iterator_tIdNS5_6detail15normal_iteratorINS5_10device_ptrIdEEEEZ4mainEUldE_EEPddNS5_4plusIdEEEEvT4_mT5_T6_T7_,@function
_ZN7rocprim6detail19block_reduce_kernelILb1ELb1ELj2ENS0_21wrapped_reduce_configINS_14default_configEdEEdN6thrust11hip_rocprim26transform_input_iterator_tIdNS5_6detail15normal_iteratorINS5_10device_ptrIdEEEEZ4mainEUldE_EEPddNS5_4plusIdEEEEvT4_mT5_T6_T7_: ; @_ZN7rocprim6detail19block_reduce_kernelILb1ELb1ELj2ENS0_21wrapped_reduce_configINS_14default_configEdEEdN6thrust11hip_rocprim26transform_input_iterator_tIdNS5_6detail15normal_iteratorINS5_10device_ptrIdEEEEZ4mainEUldE_EEPddNS5_4plusIdEEEEvT4_mT5_T6_T7_
; %bb.0:
	s_clause 0x2
	s_load_b128 s[36:39], s[0:1], 0x10
	s_load_b64 s[2:3], s[0:1], 0x0
	s_load_b64 s[30:31], s[0:1], 0x20
	s_mov_b32 s1, 0
	s_lshl_b32 s0, ttmp9, 13
	v_lshlrev_b32_e32 v1, 3, v0
	s_lshl_b64 s[4:5], s[0:1], 3
	s_mov_b32 s35, s1
	v_mbcnt_lo_u32_b32 v67, -1, 0
	s_mov_b32 s34, ttmp9
	s_wait_kmcnt 0x0
	s_lshr_b64 s[6:7], s[36:37], 13
	s_add_nc_u64 s[2:3], s[2:3], s[4:5]
	s_cmp_lg_u64 s[6:7], s[34:35]
	v_add_co_u32 v1, s1, s2, v1
	s_delay_alu instid0(VALU_DEP_1)
	v_add_co_ci_u32_e64 v2, null, s3, 0, s1
	s_cbranch_scc0 .LBB14_6
; %bb.1:
	s_clause 0x9
	global_load_b64 v[3:4], v[1:2], off
	global_load_b64 v[5:6], v[1:2], off offset:2048
	global_load_b64 v[7:8], v[1:2], off offset:4096
	;; [unrolled: 1-line block ×9, first 2 shown]
	s_mov_b32 s1, exec_lo
	s_wait_loadcnt 0x8
	v_add_f64_e64 v[3:4], |v[3:4]|, |v[5:6]|
	global_load_b64 v[5:6], v[1:2], off offset:20480
	s_wait_loadcnt 0x8
	v_add_f64_e64 v[3:4], v[3:4], |v[7:8]|
	global_load_b64 v[7:8], v[1:2], off offset:22528
	s_wait_loadcnt 0x8
	v_add_f64_e64 v[3:4], v[3:4], |v[9:10]|
	;; [unrolled: 3-line block ×22, first 2 shown]
	s_wait_loadcnt 0x7
	s_delay_alu instid0(VALU_DEP_1) | instskip(SKIP_1) | instid1(VALU_DEP_1)
	v_add_f64_e64 v[3:4], v[3:4], |v[15:16]|
	s_wait_loadcnt 0x6
	v_add_f64_e64 v[3:4], v[3:4], |v[17:18]|
	s_wait_loadcnt 0x5
	s_delay_alu instid0(VALU_DEP_1) | instskip(SKIP_1) | instid1(VALU_DEP_1)
	v_add_f64_e64 v[3:4], v[3:4], |v[19:20]|
	s_wait_loadcnt 0x4
	v_add_f64_e64 v[3:4], v[3:4], |v[21:22]|
	;; [unrolled: 5-line block ×4, first 2 shown]
	s_delay_alu instid0(VALU_DEP_1) | instskip(NEXT) | instid1(VALU_DEP_2)
	v_mov_b32_dpp v5, v3 quad_perm:[1,0,3,2] row_mask:0xf bank_mask:0xf
	v_mov_b32_dpp v6, v4 quad_perm:[1,0,3,2] row_mask:0xf bank_mask:0xf
	s_delay_alu instid0(VALU_DEP_1) | instskip(NEXT) | instid1(VALU_DEP_1)
	v_add_f64_e32 v[3:4], v[3:4], v[5:6]
	v_mov_b32_dpp v5, v3 quad_perm:[2,3,0,1] row_mask:0xf bank_mask:0xf
	s_delay_alu instid0(VALU_DEP_2) | instskip(NEXT) | instid1(VALU_DEP_1)
	v_mov_b32_dpp v6, v4 quad_perm:[2,3,0,1] row_mask:0xf bank_mask:0xf
	v_add_f64_e32 v[3:4], v[3:4], v[5:6]
	s_delay_alu instid0(VALU_DEP_1) | instskip(NEXT) | instid1(VALU_DEP_2)
	v_mov_b32_dpp v5, v3 row_ror:4 row_mask:0xf bank_mask:0xf
	v_mov_b32_dpp v6, v4 row_ror:4 row_mask:0xf bank_mask:0xf
	s_delay_alu instid0(VALU_DEP_1) | instskip(NEXT) | instid1(VALU_DEP_1)
	v_add_f64_e32 v[3:4], v[3:4], v[5:6]
	v_mov_b32_dpp v5, v3 row_ror:8 row_mask:0xf bank_mask:0xf
	s_delay_alu instid0(VALU_DEP_2) | instskip(NEXT) | instid1(VALU_DEP_1)
	v_mov_b32_dpp v6, v4 row_ror:8 row_mask:0xf bank_mask:0xf
	v_add_f64_e32 v[3:4], v[3:4], v[5:6]
	ds_swizzle_b32 v5, v3 offset:swizzle(BROADCAST,32,15)
	ds_swizzle_b32 v6, v4 offset:swizzle(BROADCAST,32,15)
	s_wait_dscnt 0x0
	v_add_f64_e32 v[3:4], v[3:4], v[5:6]
	v_mov_b32_e32 v5, 0
	ds_bpermute_b32 v3, v5, v3 offset:124
	ds_bpermute_b32 v4, v5, v4 offset:124
	v_cmpx_eq_u32_e32 0, v67
	s_cbranch_execz .LBB14_3
; %bb.2:
	v_lshrrev_b32_e32 v5, 2, v0
	s_delay_alu instid0(VALU_DEP_1)
	v_and_b32_e32 v5, 56, v5
	s_wait_dscnt 0x0
	ds_store_b64 v5, v[3:4]
.LBB14_3:
	s_wait_alu 0xfffe
	s_or_b32 exec_lo, exec_lo, s1
	s_delay_alu instid0(SALU_CYCLE_1)
	s_mov_b32 s1, exec_lo
	global_wb scope:SCOPE_SE
	s_wait_dscnt 0x0
	s_barrier_signal -1
	s_barrier_wait -1
	global_inv scope:SCOPE_SE
	v_cmpx_gt_u32_e32 32, v0
	s_cbranch_execz .LBB14_5
; %bb.4:
	v_and_b32_e32 v7, 7, v67
	s_delay_alu instid0(VALU_DEP_1) | instskip(SKIP_4) | instid1(VALU_DEP_2)
	v_lshlrev_b32_e32 v3, 3, v7
	v_cmp_ne_u32_e32 vcc_lo, 7, v7
	ds_load_b64 v[3:4], v3
	v_add_co_ci_u32_e32 v5, vcc_lo, 0, v67, vcc_lo
	v_cmp_gt_u32_e32 vcc_lo, 6, v7
	v_lshlrev_b32_e32 v6, 2, v5
	s_wait_dscnt 0x0
	ds_bpermute_b32 v5, v6, v3
	ds_bpermute_b32 v6, v6, v4
	s_wait_dscnt 0x0
	v_add_f64_e32 v[3:4], v[3:4], v[5:6]
	s_wait_alu 0xfffd
	v_cndmask_b32_e64 v5, 0, 1, vcc_lo
	v_cmp_gt_u32_e32 vcc_lo, 4, v7
	s_delay_alu instid0(VALU_DEP_2) | instskip(NEXT) | instid1(VALU_DEP_1)
	v_lshlrev_b32_e32 v5, 1, v5
	v_add_lshl_u32 v6, v5, v67, 2
	ds_bpermute_b32 v5, v6, v3
	ds_bpermute_b32 v6, v6, v4
	s_wait_dscnt 0x0
	v_add_f64_e32 v[3:4], v[3:4], v[5:6]
	s_wait_alu 0xfffd
	v_cndmask_b32_e64 v5, 0, 1, vcc_lo
	s_delay_alu instid0(VALU_DEP_1) | instskip(NEXT) | instid1(VALU_DEP_1)
	v_lshlrev_b32_e32 v5, 2, v5
	v_add_lshl_u32 v6, v5, v67, 2
	ds_bpermute_b32 v5, v6, v3
	ds_bpermute_b32 v6, v6, v4
	s_wait_dscnt 0x0
	v_add_f64_e32 v[3:4], v[3:4], v[5:6]
.LBB14_5:
	s_wait_alu 0xfffe
	s_or_b32 exec_lo, exec_lo, s1
	s_branch .LBB14_92
.LBB14_6:
                                        ; implicit-def: $vgpr3_vgpr4
	s_cbranch_execz .LBB14_92
; %bb.7:
	s_sub_co_i32 s33, s36, s0
	s_mov_b32 s0, exec_lo
                                        ; implicit-def: $vgpr3_vgpr4
	v_cmpx_gt_u32_e64 s33, v0
	s_cbranch_execz .LBB14_9
; %bb.8:
	global_load_b64 v[3:4], v[1:2], off
	s_wait_loadcnt 0x0
	v_and_b32_e32 v4, 0x7fffffff, v4
.LBB14_9:
	s_wait_alu 0xfffe
	s_or_b32 exec_lo, exec_lo, s0
	v_or_b32_e32 v5, 0x100, v0
	s_delay_alu instid0(VALU_DEP_1)
	v_cmp_gt_u32_e32 vcc_lo, s33, v5
                                        ; implicit-def: $vgpr5_vgpr6
	s_and_saveexec_b32 s0, vcc_lo
	s_cbranch_execz .LBB14_11
; %bb.10:
	global_load_b64 v[5:6], v[1:2], off offset:2048
	s_wait_loadcnt 0x0
	v_and_b32_e32 v6, 0x7fffffff, v6
.LBB14_11:
	s_wait_alu 0xfffe
	s_or_b32 exec_lo, exec_lo, s0
	v_or_b32_e32 v7, 0x200, v0
	s_delay_alu instid0(VALU_DEP_1) | instskip(NEXT) | instid1(VALU_DEP_1)
	v_cmp_gt_u32_e64 s0, s33, v7
                                        ; implicit-def: $vgpr7_vgpr8
	s_and_saveexec_b32 s1, s0
	s_cbranch_execz .LBB14_13
; %bb.12:
	global_load_b64 v[7:8], v[1:2], off offset:4096
	s_wait_loadcnt 0x0
	v_and_b32_e32 v8, 0x7fffffff, v8
.LBB14_13:
	s_wait_alu 0xfffe
	s_or_b32 exec_lo, exec_lo, s1
	v_or_b32_e32 v9, 0x300, v0
	s_delay_alu instid0(VALU_DEP_1) | instskip(NEXT) | instid1(VALU_DEP_1)
	v_cmp_gt_u32_e64 s1, s33, v9
                                        ; implicit-def: $vgpr9_vgpr10
	s_and_saveexec_b32 s2, s1
	s_cbranch_execz .LBB14_15
; %bb.14:
	global_load_b64 v[9:10], v[1:2], off offset:6144
	s_wait_loadcnt 0x0
	v_and_b32_e32 v10, 0x7fffffff, v10
.LBB14_15:
	s_wait_alu 0xfffe
	s_or_b32 exec_lo, exec_lo, s2
	v_or_b32_e32 v11, 0x400, v0
	s_delay_alu instid0(VALU_DEP_1) | instskip(NEXT) | instid1(VALU_DEP_1)
	v_cmp_gt_u32_e64 s2, s33, v11
                                        ; implicit-def: $vgpr11_vgpr12
	s_and_saveexec_b32 s3, s2
	s_cbranch_execz .LBB14_17
; %bb.16:
	global_load_b64 v[11:12], v[1:2], off offset:8192
	s_wait_loadcnt 0x0
	v_and_b32_e32 v12, 0x7fffffff, v12
.LBB14_17:
	s_wait_alu 0xfffe
	s_or_b32 exec_lo, exec_lo, s3
	v_or_b32_e32 v13, 0x500, v0
	s_delay_alu instid0(VALU_DEP_1) | instskip(NEXT) | instid1(VALU_DEP_1)
	v_cmp_gt_u32_e64 s3, s33, v13
                                        ; implicit-def: $vgpr13_vgpr14
	s_and_saveexec_b32 s4, s3
	s_cbranch_execz .LBB14_19
; %bb.18:
	global_load_b64 v[13:14], v[1:2], off offset:10240
	s_wait_loadcnt 0x0
	v_and_b32_e32 v14, 0x7fffffff, v14
.LBB14_19:
	s_or_b32 exec_lo, exec_lo, s4
	v_or_b32_e32 v15, 0x600, v0
	s_delay_alu instid0(VALU_DEP_1) | instskip(NEXT) | instid1(VALU_DEP_1)
	v_cmp_gt_u32_e64 s4, s33, v15
                                        ; implicit-def: $vgpr15_vgpr16
	s_and_saveexec_b32 s5, s4
	s_cbranch_execz .LBB14_21
; %bb.20:
	global_load_b64 v[15:16], v[1:2], off offset:12288
	s_wait_loadcnt 0x0
	v_and_b32_e32 v16, 0x7fffffff, v16
.LBB14_21:
	s_or_b32 exec_lo, exec_lo, s5
	v_or_b32_e32 v17, 0x700, v0
	s_delay_alu instid0(VALU_DEP_1) | instskip(NEXT) | instid1(VALU_DEP_1)
	v_cmp_gt_u32_e64 s5, s33, v17
                                        ; implicit-def: $vgpr17_vgpr18
	s_and_saveexec_b32 s6, s5
	s_cbranch_execz .LBB14_23
; %bb.22:
	global_load_b64 v[17:18], v[1:2], off offset:14336
	s_wait_loadcnt 0x0
	v_and_b32_e32 v18, 0x7fffffff, v18
.LBB14_23:
	s_or_b32 exec_lo, exec_lo, s6
	v_or_b32_e32 v19, 0x800, v0
	s_delay_alu instid0(VALU_DEP_1) | instskip(NEXT) | instid1(VALU_DEP_1)
	v_cmp_gt_u32_e64 s6, s33, v19
                                        ; implicit-def: $vgpr19_vgpr20
	s_and_saveexec_b32 s7, s6
	s_cbranch_execz .LBB14_25
; %bb.24:
	global_load_b64 v[19:20], v[1:2], off offset:16384
	s_wait_loadcnt 0x0
	v_and_b32_e32 v20, 0x7fffffff, v20
.LBB14_25:
	s_or_b32 exec_lo, exec_lo, s7
	v_or_b32_e32 v21, 0x900, v0
	s_delay_alu instid0(VALU_DEP_1) | instskip(NEXT) | instid1(VALU_DEP_1)
	v_cmp_gt_u32_e64 s7, s33, v21
                                        ; implicit-def: $vgpr21_vgpr22
	s_and_saveexec_b32 s8, s7
	s_cbranch_execz .LBB14_27
; %bb.26:
	global_load_b64 v[21:22], v[1:2], off offset:18432
	s_wait_loadcnt 0x0
	v_and_b32_e32 v22, 0x7fffffff, v22
.LBB14_27:
	s_or_b32 exec_lo, exec_lo, s8
	v_or_b32_e32 v23, 0xa00, v0
	s_delay_alu instid0(VALU_DEP_1) | instskip(NEXT) | instid1(VALU_DEP_1)
	v_cmp_gt_u32_e64 s8, s33, v23
                                        ; implicit-def: $vgpr23_vgpr24
	s_and_saveexec_b32 s9, s8
	s_cbranch_execz .LBB14_29
; %bb.28:
	global_load_b64 v[23:24], v[1:2], off offset:20480
	s_wait_loadcnt 0x0
	v_and_b32_e32 v24, 0x7fffffff, v24
.LBB14_29:
	s_or_b32 exec_lo, exec_lo, s9
	v_or_b32_e32 v25, 0xb00, v0
	s_delay_alu instid0(VALU_DEP_1) | instskip(NEXT) | instid1(VALU_DEP_1)
	v_cmp_gt_u32_e64 s9, s33, v25
                                        ; implicit-def: $vgpr25_vgpr26
	s_and_saveexec_b32 s10, s9
	s_cbranch_execz .LBB14_31
; %bb.30:
	global_load_b64 v[25:26], v[1:2], off offset:22528
	s_wait_loadcnt 0x0
	v_and_b32_e32 v26, 0x7fffffff, v26
.LBB14_31:
	s_or_b32 exec_lo, exec_lo, s10
	v_or_b32_e32 v27, 0xc00, v0
	s_delay_alu instid0(VALU_DEP_1) | instskip(NEXT) | instid1(VALU_DEP_1)
	v_cmp_gt_u32_e64 s10, s33, v27
                                        ; implicit-def: $vgpr27_vgpr28
	s_and_saveexec_b32 s11, s10
	s_cbranch_execz .LBB14_33
; %bb.32:
	global_load_b64 v[27:28], v[1:2], off offset:24576
	s_wait_loadcnt 0x0
	v_and_b32_e32 v28, 0x7fffffff, v28
.LBB14_33:
	s_or_b32 exec_lo, exec_lo, s11
	v_or_b32_e32 v29, 0xd00, v0
	s_delay_alu instid0(VALU_DEP_1) | instskip(NEXT) | instid1(VALU_DEP_1)
	v_cmp_gt_u32_e64 s11, s33, v29
                                        ; implicit-def: $vgpr29_vgpr30
	s_and_saveexec_b32 s12, s11
	s_cbranch_execz .LBB14_35
; %bb.34:
	global_load_b64 v[29:30], v[1:2], off offset:26624
	s_wait_loadcnt 0x0
	v_and_b32_e32 v30, 0x7fffffff, v30
.LBB14_35:
	s_or_b32 exec_lo, exec_lo, s12
	v_or_b32_e32 v31, 0xe00, v0
	s_delay_alu instid0(VALU_DEP_1) | instskip(NEXT) | instid1(VALU_DEP_1)
	v_cmp_gt_u32_e64 s12, s33, v31
                                        ; implicit-def: $vgpr31_vgpr32
	s_and_saveexec_b32 s13, s12
	s_cbranch_execz .LBB14_37
; %bb.36:
	global_load_b64 v[31:32], v[1:2], off offset:28672
	s_wait_loadcnt 0x0
	v_and_b32_e32 v32, 0x7fffffff, v32
.LBB14_37:
	s_or_b32 exec_lo, exec_lo, s13
	v_or_b32_e32 v33, 0xf00, v0
	s_delay_alu instid0(VALU_DEP_1) | instskip(NEXT) | instid1(VALU_DEP_1)
	v_cmp_gt_u32_e64 s13, s33, v33
                                        ; implicit-def: $vgpr33_vgpr34
	s_and_saveexec_b32 s14, s13
	s_cbranch_execz .LBB14_39
; %bb.38:
	global_load_b64 v[33:34], v[1:2], off offset:30720
	s_wait_loadcnt 0x0
	v_and_b32_e32 v34, 0x7fffffff, v34
.LBB14_39:
	s_or_b32 exec_lo, exec_lo, s14
	v_or_b32_e32 v35, 0x1000, v0
	s_delay_alu instid0(VALU_DEP_1) | instskip(NEXT) | instid1(VALU_DEP_1)
	v_cmp_gt_u32_e64 s14, s33, v35
                                        ; implicit-def: $vgpr35_vgpr36
	s_and_saveexec_b32 s15, s14
	s_cbranch_execz .LBB14_41
; %bb.40:
	global_load_b64 v[35:36], v[1:2], off offset:32768
	s_wait_loadcnt 0x0
	v_and_b32_e32 v36, 0x7fffffff, v36
.LBB14_41:
	s_or_b32 exec_lo, exec_lo, s15
	v_or_b32_e32 v37, 0x1100, v0
	s_delay_alu instid0(VALU_DEP_1) | instskip(NEXT) | instid1(VALU_DEP_1)
	v_cmp_gt_u32_e64 s15, s33, v37
                                        ; implicit-def: $vgpr37_vgpr38
	s_and_saveexec_b32 s16, s15
	s_cbranch_execz .LBB14_43
; %bb.42:
	global_load_b64 v[37:38], v[1:2], off offset:34816
	s_wait_loadcnt 0x0
	v_and_b32_e32 v38, 0x7fffffff, v38
.LBB14_43:
	s_or_b32 exec_lo, exec_lo, s16
	v_or_b32_e32 v39, 0x1200, v0
	s_delay_alu instid0(VALU_DEP_1) | instskip(NEXT) | instid1(VALU_DEP_1)
	v_cmp_gt_u32_e64 s16, s33, v39
                                        ; implicit-def: $vgpr39_vgpr40
	s_and_saveexec_b32 s17, s16
	s_cbranch_execz .LBB14_45
; %bb.44:
	global_load_b64 v[39:40], v[1:2], off offset:36864
	s_wait_loadcnt 0x0
	v_and_b32_e32 v40, 0x7fffffff, v40
.LBB14_45:
	s_or_b32 exec_lo, exec_lo, s17
	v_or_b32_e32 v41, 0x1300, v0
	s_delay_alu instid0(VALU_DEP_1) | instskip(NEXT) | instid1(VALU_DEP_1)
	v_cmp_gt_u32_e64 s17, s33, v41
                                        ; implicit-def: $vgpr41_vgpr42
	s_and_saveexec_b32 s18, s17
	s_cbranch_execz .LBB14_47
; %bb.46:
	global_load_b64 v[41:42], v[1:2], off offset:38912
	s_wait_loadcnt 0x0
	v_and_b32_e32 v42, 0x7fffffff, v42
.LBB14_47:
	s_or_b32 exec_lo, exec_lo, s18
	v_or_b32_e32 v43, 0x1400, v0
	s_delay_alu instid0(VALU_DEP_1) | instskip(NEXT) | instid1(VALU_DEP_1)
	v_cmp_gt_u32_e64 s18, s33, v43
                                        ; implicit-def: $vgpr43_vgpr44
	s_and_saveexec_b32 s19, s18
	s_cbranch_execz .LBB14_49
; %bb.48:
	global_load_b64 v[43:44], v[1:2], off offset:40960
	s_wait_loadcnt 0x0
	v_and_b32_e32 v44, 0x7fffffff, v44
.LBB14_49:
	s_or_b32 exec_lo, exec_lo, s19
	v_or_b32_e32 v45, 0x1500, v0
	s_delay_alu instid0(VALU_DEP_1) | instskip(NEXT) | instid1(VALU_DEP_1)
	v_cmp_gt_u32_e64 s19, s33, v45
                                        ; implicit-def: $vgpr45_vgpr46
	s_and_saveexec_b32 s20, s19
	s_cbranch_execz .LBB14_51
; %bb.50:
	global_load_b64 v[45:46], v[1:2], off offset:43008
	s_wait_loadcnt 0x0
	v_and_b32_e32 v46, 0x7fffffff, v46
.LBB14_51:
	s_or_b32 exec_lo, exec_lo, s20
	v_or_b32_e32 v47, 0x1600, v0
	s_delay_alu instid0(VALU_DEP_1) | instskip(NEXT) | instid1(VALU_DEP_1)
	v_cmp_gt_u32_e64 s20, s33, v47
                                        ; implicit-def: $vgpr47_vgpr48
	s_and_saveexec_b32 s21, s20
	s_cbranch_execz .LBB14_53
; %bb.52:
	global_load_b64 v[47:48], v[1:2], off offset:45056
	s_wait_loadcnt 0x0
	v_and_b32_e32 v48, 0x7fffffff, v48
.LBB14_53:
	s_or_b32 exec_lo, exec_lo, s21
	v_or_b32_e32 v49, 0x1700, v0
	s_delay_alu instid0(VALU_DEP_1) | instskip(NEXT) | instid1(VALU_DEP_1)
	v_cmp_gt_u32_e64 s21, s33, v49
                                        ; implicit-def: $vgpr49_vgpr50
	s_and_saveexec_b32 s22, s21
	s_cbranch_execz .LBB14_55
; %bb.54:
	global_load_b64 v[49:50], v[1:2], off offset:47104
	s_wait_loadcnt 0x0
	v_and_b32_e32 v50, 0x7fffffff, v50
.LBB14_55:
	s_or_b32 exec_lo, exec_lo, s22
	v_or_b32_e32 v51, 0x1800, v0
	s_delay_alu instid0(VALU_DEP_1) | instskip(NEXT) | instid1(VALU_DEP_1)
	v_cmp_gt_u32_e64 s22, s33, v51
                                        ; implicit-def: $vgpr51_vgpr52
	s_and_saveexec_b32 s23, s22
	s_cbranch_execz .LBB14_57
; %bb.56:
	global_load_b64 v[51:52], v[1:2], off offset:49152
	s_wait_loadcnt 0x0
	v_and_b32_e32 v52, 0x7fffffff, v52
.LBB14_57:
	s_or_b32 exec_lo, exec_lo, s23
	v_or_b32_e32 v53, 0x1900, v0
	s_delay_alu instid0(VALU_DEP_1) | instskip(NEXT) | instid1(VALU_DEP_1)
	v_cmp_gt_u32_e64 s23, s33, v53
                                        ; implicit-def: $vgpr53_vgpr54
	s_and_saveexec_b32 s24, s23
	s_cbranch_execz .LBB14_59
; %bb.58:
	global_load_b64 v[53:54], v[1:2], off offset:51200
	s_wait_loadcnt 0x0
	v_and_b32_e32 v54, 0x7fffffff, v54
.LBB14_59:
	s_or_b32 exec_lo, exec_lo, s24
	v_or_b32_e32 v55, 0x1a00, v0
	s_delay_alu instid0(VALU_DEP_1) | instskip(NEXT) | instid1(VALU_DEP_1)
	v_cmp_gt_u32_e64 s24, s33, v55
                                        ; implicit-def: $vgpr55_vgpr56
	s_and_saveexec_b32 s25, s24
	s_cbranch_execz .LBB14_61
; %bb.60:
	global_load_b64 v[55:56], v[1:2], off offset:53248
	s_wait_loadcnt 0x0
	v_and_b32_e32 v56, 0x7fffffff, v56
.LBB14_61:
	s_or_b32 exec_lo, exec_lo, s25
	v_or_b32_e32 v57, 0x1b00, v0
	s_delay_alu instid0(VALU_DEP_1) | instskip(NEXT) | instid1(VALU_DEP_1)
	v_cmp_gt_u32_e64 s25, s33, v57
                                        ; implicit-def: $vgpr57_vgpr58
	s_and_saveexec_b32 s26, s25
	s_cbranch_execz .LBB14_63
; %bb.62:
	global_load_b64 v[57:58], v[1:2], off offset:55296
	s_wait_loadcnt 0x0
	v_and_b32_e32 v58, 0x7fffffff, v58
.LBB14_63:
	s_or_b32 exec_lo, exec_lo, s26
	v_or_b32_e32 v59, 0x1c00, v0
	s_delay_alu instid0(VALU_DEP_1) | instskip(NEXT) | instid1(VALU_DEP_1)
	v_cmp_gt_u32_e64 s26, s33, v59
                                        ; implicit-def: $vgpr59_vgpr60
	s_and_saveexec_b32 s27, s26
	s_cbranch_execz .LBB14_65
; %bb.64:
	global_load_b64 v[59:60], v[1:2], off offset:57344
	s_wait_loadcnt 0x0
	v_and_b32_e32 v60, 0x7fffffff, v60
.LBB14_65:
	s_or_b32 exec_lo, exec_lo, s27
	v_or_b32_e32 v61, 0x1d00, v0
	s_delay_alu instid0(VALU_DEP_1) | instskip(NEXT) | instid1(VALU_DEP_1)
	v_cmp_gt_u32_e64 s27, s33, v61
                                        ; implicit-def: $vgpr61_vgpr62
	s_and_saveexec_b32 s28, s27
	s_cbranch_execz .LBB14_67
; %bb.66:
	global_load_b64 v[61:62], v[1:2], off offset:59392
	s_wait_loadcnt 0x0
	v_and_b32_e32 v62, 0x7fffffff, v62
.LBB14_67:
	s_or_b32 exec_lo, exec_lo, s28
	v_or_b32_e32 v63, 0x1e00, v0
	s_delay_alu instid0(VALU_DEP_1) | instskip(NEXT) | instid1(VALU_DEP_1)
	v_cmp_gt_u32_e64 s28, s33, v63
                                        ; implicit-def: $vgpr63_vgpr64
	s_and_saveexec_b32 s29, s28
	s_cbranch_execz .LBB14_69
; %bb.68:
	global_load_b64 v[63:64], v[1:2], off offset:61440
	s_wait_loadcnt 0x0
	v_and_b32_e32 v64, 0x7fffffff, v64
.LBB14_69:
	s_or_b32 exec_lo, exec_lo, s29
	v_or_b32_e32 v65, 0x1f00, v0
	s_delay_alu instid0(VALU_DEP_1) | instskip(NEXT) | instid1(VALU_DEP_1)
	v_cmp_gt_u32_e64 s29, s33, v65
                                        ; implicit-def: $vgpr65_vgpr66
	s_and_saveexec_b32 s40, s29
	s_cbranch_execz .LBB14_71
; %bb.70:
	global_load_b64 v[65:66], v[1:2], off offset:63488
	s_wait_loadcnt 0x0
	v_and_b32_e32 v66, 0x7fffffff, v66
.LBB14_71:
	s_or_b32 exec_lo, exec_lo, s40
	v_add_f64_e32 v[1:2], v[3:4], v[5:6]
	v_add_nc_u32_e32 v6, 1, v67
	s_delay_alu instid0(VALU_DEP_2) | instskip(SKIP_1) | instid1(VALU_DEP_2)
	v_dual_cndmask_b32 v2, v4, v2 :: v_dual_cndmask_b32 v1, v3, v1
	v_cmp_ne_u32_e32 vcc_lo, 31, v67
	v_add_f64_e32 v[3:4], v[1:2], v[7:8]
	s_wait_alu 0xfffd
	v_add_co_ci_u32_e32 v5, vcc_lo, 0, v67, vcc_lo
	s_delay_alu instid0(VALU_DEP_1) | instskip(NEXT) | instid1(VALU_DEP_3)
	v_lshlrev_b32_e32 v5, 2, v5
	v_cndmask_b32_e64 v2, v2, v4, s0
	s_delay_alu instid0(VALU_DEP_4) | instskip(SKIP_1) | instid1(VALU_DEP_1)
	v_cndmask_b32_e64 v1, v1, v3, s0
	s_min_u32 s0, s33, 0x100
	v_add_f64_e32 v[3:4], v[1:2], v[9:10]
	s_delay_alu instid0(VALU_DEP_1) | instskip(NEXT) | instid1(VALU_DEP_2)
	v_cndmask_b32_e64 v2, v2, v4, s1
	v_cndmask_b32_e64 v1, v1, v3, s1
	s_mov_b32 s1, exec_lo
	s_delay_alu instid0(VALU_DEP_1) | instskip(NEXT) | instid1(VALU_DEP_1)
	v_add_f64_e32 v[3:4], v[1:2], v[11:12]
	v_cndmask_b32_e64 v2, v2, v4, s2
	s_delay_alu instid0(VALU_DEP_2) | instskip(NEXT) | instid1(VALU_DEP_1)
	v_cndmask_b32_e64 v1, v1, v3, s2
	v_add_f64_e32 v[3:4], v[1:2], v[13:14]
	s_delay_alu instid0(VALU_DEP_1) | instskip(NEXT) | instid1(VALU_DEP_2)
	v_cndmask_b32_e64 v2, v2, v4, s3
	v_cndmask_b32_e64 v1, v1, v3, s3
	s_delay_alu instid0(VALU_DEP_1) | instskip(NEXT) | instid1(VALU_DEP_1)
	v_add_f64_e32 v[3:4], v[1:2], v[15:16]
	v_cndmask_b32_e64 v2, v2, v4, s4
	s_delay_alu instid0(VALU_DEP_2) | instskip(NEXT) | instid1(VALU_DEP_1)
	v_cndmask_b32_e64 v1, v1, v3, s4
	v_add_f64_e32 v[3:4], v[1:2], v[17:18]
	s_delay_alu instid0(VALU_DEP_1) | instskip(NEXT) | instid1(VALU_DEP_2)
	v_cndmask_b32_e64 v2, v2, v4, s5
	v_cndmask_b32_e64 v1, v1, v3, s5
	;; [unrolled: 9-line block ×14, first 2 shown]
	ds_bpermute_b32 v1, v5, v3
	ds_bpermute_b32 v2, v5, v4
	v_and_b32_e32 v5, 0xe0, v0
	s_wait_alu 0xfffe
	s_delay_alu instid0(VALU_DEP_1) | instskip(NEXT) | instid1(VALU_DEP_1)
	v_sub_nc_u32_e64 v5, s0, v5 clamp
	v_cmpx_lt_u32_e64 v6, v5
	s_cbranch_execz .LBB14_73
; %bb.72:
	s_wait_dscnt 0x0
	v_add_f64_e32 v[3:4], v[3:4], v[1:2]
.LBB14_73:
	s_or_b32 exec_lo, exec_lo, s1
	v_cmp_gt_u32_e32 vcc_lo, 30, v67
	v_add_nc_u32_e32 v6, 2, v67
	s_mov_b32 s1, exec_lo
	s_wait_dscnt 0x1
	s_wait_alu 0xfffd
	v_cndmask_b32_e64 v1, 0, 1, vcc_lo
	s_delay_alu instid0(VALU_DEP_1) | instskip(SKIP_1) | instid1(VALU_DEP_1)
	v_lshlrev_b32_e32 v1, 1, v1
	s_wait_dscnt 0x0
	v_add_lshl_u32 v2, v1, v67, 2
	ds_bpermute_b32 v1, v2, v3
	ds_bpermute_b32 v2, v2, v4
	v_cmpx_lt_u32_e64 v6, v5
	s_cbranch_execz .LBB14_75
; %bb.74:
	s_wait_dscnt 0x0
	v_add_f64_e32 v[3:4], v[3:4], v[1:2]
.LBB14_75:
	s_wait_alu 0xfffe
	s_or_b32 exec_lo, exec_lo, s1
	v_cmp_gt_u32_e32 vcc_lo, 28, v67
	v_add_nc_u32_e32 v6, 4, v67
	s_mov_b32 s1, exec_lo
	s_wait_dscnt 0x1
	s_wait_alu 0xfffd
	v_cndmask_b32_e64 v1, 0, 1, vcc_lo
	s_delay_alu instid0(VALU_DEP_1) | instskip(SKIP_1) | instid1(VALU_DEP_1)
	v_lshlrev_b32_e32 v1, 2, v1
	s_wait_dscnt 0x0
	v_add_lshl_u32 v2, v1, v67, 2
	ds_bpermute_b32 v1, v2, v3
	ds_bpermute_b32 v2, v2, v4
	v_cmpx_lt_u32_e64 v6, v5
	s_cbranch_execz .LBB14_77
; %bb.76:
	s_wait_dscnt 0x0
	v_add_f64_e32 v[3:4], v[3:4], v[1:2]
.LBB14_77:
	s_wait_alu 0xfffe
	;; [unrolled: 20-line block ×4, first 2 shown]
	s_or_b32 exec_lo, exec_lo, s1
	s_delay_alu instid0(SALU_CYCLE_1)
	s_mov_b32 s1, exec_lo
	v_cmpx_eq_u32_e32 0, v67
	s_cbranch_execz .LBB14_83
; %bb.82:
	s_wait_dscnt 0x1
	v_lshrrev_b32_e32 v1, 2, v0
	s_delay_alu instid0(VALU_DEP_1)
	v_and_b32_e32 v1, 56, v1
	ds_store_b64 v1, v[3:4] offset:64
.LBB14_83:
	s_wait_alu 0xfffe
	s_or_b32 exec_lo, exec_lo, s1
	s_delay_alu instid0(SALU_CYCLE_1)
	s_mov_b32 s1, exec_lo
	global_wb scope:SCOPE_SE
	s_wait_dscnt 0x0
	s_barrier_signal -1
	s_barrier_wait -1
	global_inv scope:SCOPE_SE
	v_cmpx_gt_u32_e32 8, v0
	s_cbranch_execz .LBB14_91
; %bb.84:
	v_lshlrev_b32_e32 v1, 3, v67
	v_and_b32_e32 v5, 7, v67
	s_add_co_i32 s0, s0, 31
	s_mov_b32 s2, exec_lo
	s_wait_alu 0xfffe
	s_lshr_b32 s0, s0, 5
	ds_load_b64 v[3:4], v1 offset:64
	v_cmp_ne_u32_e32 vcc_lo, 7, v5
	v_add_nc_u32_e32 v6, 1, v5
	s_wait_alu 0xfffd
	v_add_co_ci_u32_e32 v1, vcc_lo, 0, v67, vcc_lo
	s_delay_alu instid0(VALU_DEP_1)
	v_lshlrev_b32_e32 v2, 2, v1
	s_wait_dscnt 0x0
	ds_bpermute_b32 v1, v2, v3
	ds_bpermute_b32 v2, v2, v4
	s_wait_alu 0xfffe
	v_cmpx_gt_u32_e64 s0, v6
	s_cbranch_execz .LBB14_86
; %bb.85:
	s_wait_dscnt 0x0
	v_add_f64_e32 v[3:4], v[3:4], v[1:2]
.LBB14_86:
	s_or_b32 exec_lo, exec_lo, s2
	v_cmp_gt_u32_e32 vcc_lo, 6, v5
	v_add_nc_u32_e32 v6, 2, v5
	s_mov_b32 s2, exec_lo
	s_wait_dscnt 0x1
	s_wait_alu 0xfffd
	v_cndmask_b32_e64 v1, 0, 1, vcc_lo
	s_delay_alu instid0(VALU_DEP_1) | instskip(SKIP_1) | instid1(VALU_DEP_1)
	v_lshlrev_b32_e32 v1, 1, v1
	s_wait_dscnt 0x0
	v_add_lshl_u32 v2, v1, v67, 2
	ds_bpermute_b32 v1, v2, v3
	ds_bpermute_b32 v2, v2, v4
	v_cmpx_gt_u32_e64 s0, v6
	s_cbranch_execz .LBB14_88
; %bb.87:
	s_wait_dscnt 0x0
	v_add_f64_e32 v[3:4], v[3:4], v[1:2]
.LBB14_88:
	s_wait_alu 0xfffe
	s_or_b32 exec_lo, exec_lo, s2
	v_cmp_gt_u32_e32 vcc_lo, 4, v5
	v_add_nc_u32_e32 v5, 4, v5
	s_wait_dscnt 0x1
	s_wait_alu 0xfffd
	v_cndmask_b32_e64 v1, 0, 1, vcc_lo
	s_delay_alu instid0(VALU_DEP_2) | instskip(NEXT) | instid1(VALU_DEP_2)
	v_cmp_gt_u32_e32 vcc_lo, s0, v5
	v_lshlrev_b32_e32 v1, 2, v1
	s_wait_dscnt 0x0
	s_delay_alu instid0(VALU_DEP_1)
	v_add_lshl_u32 v2, v1, v67, 2
	ds_bpermute_b32 v1, v2, v3
	ds_bpermute_b32 v2, v2, v4
	s_and_saveexec_b32 s0, vcc_lo
	s_cbranch_execz .LBB14_90
; %bb.89:
	s_wait_dscnt 0x0
	v_add_f64_e32 v[3:4], v[3:4], v[1:2]
.LBB14_90:
	s_wait_alu 0xfffe
	s_or_b32 exec_lo, exec_lo, s0
.LBB14_91:
	s_wait_alu 0xfffe
	s_or_b32 exec_lo, exec_lo, s1
.LBB14_92:
	s_delay_alu instid0(SALU_CYCLE_1)
	s_mov_b32 s0, exec_lo
	v_cmpx_eq_u32_e32 0, v0
	s_cbranch_execz .LBB14_94
; %bb.93:
	s_wait_dscnt 0x1
	s_delay_alu instid0(VALU_DEP_2)
	v_add_f64_e32 v[0:1], s[30:31], v[3:4]
	s_lshl_b64 s[0:1], s[34:35], 3
	s_cmp_eq_u64 s[36:37], 0
	s_wait_dscnt 0x0
	v_mov_b32_e32 v2, 0
	s_cselect_b32 s2, -1, 0
	s_wait_alu 0xfffe
	s_add_nc_u64 s[0:1], s[38:39], s[0:1]
	s_delay_alu instid0(VALU_DEP_2) | instskip(NEXT) | instid1(VALU_DEP_3)
	v_cndmask_b32_e64 v1, v1, s31, s2
	v_cndmask_b32_e64 v0, v0, s30, s2
	global_store_b64 v2, v[0:1], s[0:1]
.LBB14_94:
	s_nop 0
	s_sendmsg sendmsg(MSG_DEALLOC_VGPRS)
	s_endpgm
	.section	.rodata,"a",@progbits
	.p2align	6, 0x0
	.amdhsa_kernel _ZN7rocprim6detail19block_reduce_kernelILb1ELb1ELj2ENS0_21wrapped_reduce_configINS_14default_configEdEEdN6thrust11hip_rocprim26transform_input_iterator_tIdNS5_6detail15normal_iteratorINS5_10device_ptrIdEEEEZ4mainEUldE_EEPddNS5_4plusIdEEEEvT4_mT5_T6_T7_
		.amdhsa_group_segment_fixed_size 128
		.amdhsa_private_segment_fixed_size 0
		.amdhsa_kernarg_size 44
		.amdhsa_user_sgpr_count 2
		.amdhsa_user_sgpr_dispatch_ptr 0
		.amdhsa_user_sgpr_queue_ptr 0
		.amdhsa_user_sgpr_kernarg_segment_ptr 1
		.amdhsa_user_sgpr_dispatch_id 0
		.amdhsa_user_sgpr_private_segment_size 0
		.amdhsa_wavefront_size32 1
		.amdhsa_uses_dynamic_stack 0
		.amdhsa_enable_private_segment 0
		.amdhsa_system_sgpr_workgroup_id_x 1
		.amdhsa_system_sgpr_workgroup_id_y 0
		.amdhsa_system_sgpr_workgroup_id_z 0
		.amdhsa_system_sgpr_workgroup_info 0
		.amdhsa_system_vgpr_workitem_id 0
		.amdhsa_next_free_vgpr 68
		.amdhsa_next_free_sgpr 41
		.amdhsa_reserve_vcc 1
		.amdhsa_float_round_mode_32 0
		.amdhsa_float_round_mode_16_64 0
		.amdhsa_float_denorm_mode_32 3
		.amdhsa_float_denorm_mode_16_64 3
		.amdhsa_fp16_overflow 0
		.amdhsa_workgroup_processor_mode 1
		.amdhsa_memory_ordered 1
		.amdhsa_forward_progress 0
		.amdhsa_round_robin_scheduling 0
		.amdhsa_exception_fp_ieee_invalid_op 0
		.amdhsa_exception_fp_denorm_src 0
		.amdhsa_exception_fp_ieee_div_zero 0
		.amdhsa_exception_fp_ieee_overflow 0
		.amdhsa_exception_fp_ieee_underflow 0
		.amdhsa_exception_fp_ieee_inexact 0
		.amdhsa_exception_int_div_zero 0
	.end_amdhsa_kernel
	.section	.text._ZN7rocprim6detail19block_reduce_kernelILb1ELb1ELj2ENS0_21wrapped_reduce_configINS_14default_configEdEEdN6thrust11hip_rocprim26transform_input_iterator_tIdNS5_6detail15normal_iteratorINS5_10device_ptrIdEEEEZ4mainEUldE_EEPddNS5_4plusIdEEEEvT4_mT5_T6_T7_,"axG",@progbits,_ZN7rocprim6detail19block_reduce_kernelILb1ELb1ELj2ENS0_21wrapped_reduce_configINS_14default_configEdEEdN6thrust11hip_rocprim26transform_input_iterator_tIdNS5_6detail15normal_iteratorINS5_10device_ptrIdEEEEZ4mainEUldE_EEPddNS5_4plusIdEEEEvT4_mT5_T6_T7_,comdat
.Lfunc_end14:
	.size	_ZN7rocprim6detail19block_reduce_kernelILb1ELb1ELj2ENS0_21wrapped_reduce_configINS_14default_configEdEEdN6thrust11hip_rocprim26transform_input_iterator_tIdNS5_6detail15normal_iteratorINS5_10device_ptrIdEEEEZ4mainEUldE_EEPddNS5_4plusIdEEEEvT4_mT5_T6_T7_, .Lfunc_end14-_ZN7rocprim6detail19block_reduce_kernelILb1ELb1ELj2ENS0_21wrapped_reduce_configINS_14default_configEdEEdN6thrust11hip_rocprim26transform_input_iterator_tIdNS5_6detail15normal_iteratorINS5_10device_ptrIdEEEEZ4mainEUldE_EEPddNS5_4plusIdEEEEvT4_mT5_T6_T7_
                                        ; -- End function
	.section	.AMDGPU.csdata,"",@progbits
; Kernel info:
; codeLenInByte = 4864
; NumSgprs: 43
; NumVgprs: 68
; ScratchSize: 0
; MemoryBound: 1
; FloatMode: 240
; IeeeMode: 1
; LDSByteSize: 128 bytes/workgroup (compile time only)
; SGPRBlocks: 5
; VGPRBlocks: 8
; NumSGPRsForWavesPerEU: 43
; NumVGPRsForWavesPerEU: 68
; Occupancy: 16
; WaveLimiterHint : 1
; COMPUTE_PGM_RSRC2:SCRATCH_EN: 0
; COMPUTE_PGM_RSRC2:USER_SGPR: 2
; COMPUTE_PGM_RSRC2:TRAP_HANDLER: 0
; COMPUTE_PGM_RSRC2:TGID_X_EN: 1
; COMPUTE_PGM_RSRC2:TGID_Y_EN: 0
; COMPUTE_PGM_RSRC2:TGID_Z_EN: 0
; COMPUTE_PGM_RSRC2:TIDIG_COMP_CNT: 0
	.section	.text._ZN7rocprim6detail19block_reduce_kernelILb1ELb1ELj4ENS0_21wrapped_reduce_configINS_14default_configEdEEdN6thrust11hip_rocprim26transform_input_iterator_tIdNS5_6detail15normal_iteratorINS5_10device_ptrIdEEEEZ4mainEUldE_EEPddNS5_4plusIdEEEEvT4_mT5_T6_T7_,"axG",@progbits,_ZN7rocprim6detail19block_reduce_kernelILb1ELb1ELj4ENS0_21wrapped_reduce_configINS_14default_configEdEEdN6thrust11hip_rocprim26transform_input_iterator_tIdNS5_6detail15normal_iteratorINS5_10device_ptrIdEEEEZ4mainEUldE_EEPddNS5_4plusIdEEEEvT4_mT5_T6_T7_,comdat
	.globl	_ZN7rocprim6detail19block_reduce_kernelILb1ELb1ELj4ENS0_21wrapped_reduce_configINS_14default_configEdEEdN6thrust11hip_rocprim26transform_input_iterator_tIdNS5_6detail15normal_iteratorINS5_10device_ptrIdEEEEZ4mainEUldE_EEPddNS5_4plusIdEEEEvT4_mT5_T6_T7_ ; -- Begin function _ZN7rocprim6detail19block_reduce_kernelILb1ELb1ELj4ENS0_21wrapped_reduce_configINS_14default_configEdEEdN6thrust11hip_rocprim26transform_input_iterator_tIdNS5_6detail15normal_iteratorINS5_10device_ptrIdEEEEZ4mainEUldE_EEPddNS5_4plusIdEEEEvT4_mT5_T6_T7_
	.p2align	8
	.type	_ZN7rocprim6detail19block_reduce_kernelILb1ELb1ELj4ENS0_21wrapped_reduce_configINS_14default_configEdEEdN6thrust11hip_rocprim26transform_input_iterator_tIdNS5_6detail15normal_iteratorINS5_10device_ptrIdEEEEZ4mainEUldE_EEPddNS5_4plusIdEEEEvT4_mT5_T6_T7_,@function
_ZN7rocprim6detail19block_reduce_kernelILb1ELb1ELj4ENS0_21wrapped_reduce_configINS_14default_configEdEEdN6thrust11hip_rocprim26transform_input_iterator_tIdNS5_6detail15normal_iteratorINS5_10device_ptrIdEEEEZ4mainEUldE_EEPddNS5_4plusIdEEEEvT4_mT5_T6_T7_: ; @_ZN7rocprim6detail19block_reduce_kernelILb1ELb1ELj4ENS0_21wrapped_reduce_configINS_14default_configEdEEdN6thrust11hip_rocprim26transform_input_iterator_tIdNS5_6detail15normal_iteratorINS5_10device_ptrIdEEEEZ4mainEUldE_EEPddNS5_4plusIdEEEEvT4_mT5_T6_T7_
; %bb.0:
	s_clause 0x2
	s_load_b128 s[64:67], s[0:1], 0x10
	s_load_b64 s[2:3], s[0:1], 0x0
	s_load_b64 s[68:69], s[0:1], 0x20
	s_mov_b32 s1, 0
	s_lshl_b32 s0, ttmp9, 14
	v_lshlrev_b32_e32 v1, 3, v0
	s_lshl_b64 s[4:5], s[0:1], 3
	s_mov_b32 s71, s1
	v_mbcnt_lo_u32_b32 v131, -1, 0
	s_mov_b32 s70, ttmp9
	s_wait_kmcnt 0x0
	s_lshr_b64 s[6:7], s[64:65], 14
	s_add_nc_u64 s[2:3], s[2:3], s[4:5]
	s_cmp_lg_u64 s[6:7], s[70:71]
	v_add_co_u32 v1, s1, s2, v1
	s_delay_alu instid0(VALU_DEP_1)
	v_add_co_ci_u32_e64 v2, null, s3, 0, s1
	s_cbranch_scc0 .LBB15_6
; %bb.1:
	s_clause 0x9
	global_load_b64 v[3:4], v[1:2], off
	global_load_b64 v[5:6], v[1:2], off offset:2048
	global_load_b64 v[7:8], v[1:2], off offset:4096
	;; [unrolled: 1-line block ×9, first 2 shown]
	s_mov_b32 s1, exec_lo
	s_wait_loadcnt 0x8
	v_add_f64_e64 v[3:4], |v[3:4]|, |v[5:6]|
	global_load_b64 v[5:6], v[1:2], off offset:20480
	s_wait_loadcnt 0x8
	v_add_f64_e64 v[3:4], v[3:4], |v[7:8]|
	global_load_b64 v[7:8], v[1:2], off offset:22528
	s_wait_loadcnt 0x8
	v_add_f64_e64 v[3:4], v[3:4], |v[9:10]|
	;; [unrolled: 3-line block ×54, first 2 shown]
	s_wait_loadcnt 0x7
	s_delay_alu instid0(VALU_DEP_1) | instskip(SKIP_1) | instid1(VALU_DEP_1)
	v_add_f64_e64 v[3:4], v[3:4], |v[7:8]|
	s_wait_loadcnt 0x6
	v_add_f64_e64 v[3:4], v[3:4], |v[9:10]|
	s_wait_loadcnt 0x5
	s_delay_alu instid0(VALU_DEP_1) | instskip(SKIP_1) | instid1(VALU_DEP_1)
	v_add_f64_e64 v[3:4], v[3:4], |v[11:12]|
	s_wait_loadcnt 0x4
	v_add_f64_e64 v[3:4], v[3:4], |v[13:14]|
	s_wait_loadcnt 0x3
	s_delay_alu instid0(VALU_DEP_1) | instskip(SKIP_1) | instid1(VALU_DEP_1)
	v_add_f64_e64 v[3:4], v[3:4], |v[15:16]|
	s_wait_loadcnt 0x2
	v_add_f64_e64 v[3:4], v[3:4], |v[17:18]|
	s_wait_loadcnt 0x1
	s_delay_alu instid0(VALU_DEP_1) | instskip(SKIP_1) | instid1(VALU_DEP_1)
	v_add_f64_e64 v[3:4], v[3:4], |v[19:20]|
	s_wait_loadcnt 0x0
	v_add_f64_e64 v[3:4], v[3:4], |v[21:22]|
	s_delay_alu instid0(VALU_DEP_1) | instskip(NEXT) | instid1(VALU_DEP_2)
	v_mov_b32_dpp v5, v3 quad_perm:[1,0,3,2] row_mask:0xf bank_mask:0xf
	v_mov_b32_dpp v6, v4 quad_perm:[1,0,3,2] row_mask:0xf bank_mask:0xf
	s_delay_alu instid0(VALU_DEP_1) | instskip(NEXT) | instid1(VALU_DEP_1)
	v_add_f64_e32 v[3:4], v[3:4], v[5:6]
	v_mov_b32_dpp v5, v3 quad_perm:[2,3,0,1] row_mask:0xf bank_mask:0xf
	s_delay_alu instid0(VALU_DEP_2) | instskip(NEXT) | instid1(VALU_DEP_1)
	v_mov_b32_dpp v6, v4 quad_perm:[2,3,0,1] row_mask:0xf bank_mask:0xf
	v_add_f64_e32 v[3:4], v[3:4], v[5:6]
	s_delay_alu instid0(VALU_DEP_1) | instskip(NEXT) | instid1(VALU_DEP_2)
	v_mov_b32_dpp v5, v3 row_ror:4 row_mask:0xf bank_mask:0xf
	v_mov_b32_dpp v6, v4 row_ror:4 row_mask:0xf bank_mask:0xf
	s_delay_alu instid0(VALU_DEP_1) | instskip(NEXT) | instid1(VALU_DEP_1)
	v_add_f64_e32 v[3:4], v[3:4], v[5:6]
	v_mov_b32_dpp v5, v3 row_ror:8 row_mask:0xf bank_mask:0xf
	s_delay_alu instid0(VALU_DEP_2) | instskip(NEXT) | instid1(VALU_DEP_1)
	v_mov_b32_dpp v6, v4 row_ror:8 row_mask:0xf bank_mask:0xf
	v_add_f64_e32 v[3:4], v[3:4], v[5:6]
	ds_swizzle_b32 v5, v3 offset:swizzle(BROADCAST,32,15)
	ds_swizzle_b32 v6, v4 offset:swizzle(BROADCAST,32,15)
	s_wait_dscnt 0x0
	v_add_f64_e32 v[3:4], v[3:4], v[5:6]
	v_mov_b32_e32 v5, 0
	ds_bpermute_b32 v3, v5, v3 offset:124
	ds_bpermute_b32 v4, v5, v4 offset:124
	v_cmpx_eq_u32_e32 0, v131
	s_cbranch_execz .LBB15_3
; %bb.2:
	v_lshrrev_b32_e32 v5, 2, v0
	s_delay_alu instid0(VALU_DEP_1)
	v_and_b32_e32 v5, 56, v5
	s_wait_dscnt 0x0
	ds_store_b64 v5, v[3:4]
.LBB15_3:
	s_wait_alu 0xfffe
	s_or_b32 exec_lo, exec_lo, s1
	s_delay_alu instid0(SALU_CYCLE_1)
	s_mov_b32 s1, exec_lo
	global_wb scope:SCOPE_SE
	s_wait_dscnt 0x0
	s_barrier_signal -1
	s_barrier_wait -1
	global_inv scope:SCOPE_SE
	v_cmpx_gt_u32_e32 32, v0
	s_cbranch_execz .LBB15_5
; %bb.4:
	v_and_b32_e32 v7, 7, v131
	s_delay_alu instid0(VALU_DEP_1) | instskip(SKIP_4) | instid1(VALU_DEP_2)
	v_lshlrev_b32_e32 v3, 3, v7
	v_cmp_ne_u32_e32 vcc_lo, 7, v7
	ds_load_b64 v[3:4], v3
	v_add_co_ci_u32_e32 v5, vcc_lo, 0, v131, vcc_lo
	v_cmp_gt_u32_e32 vcc_lo, 6, v7
	v_lshlrev_b32_e32 v6, 2, v5
	s_wait_dscnt 0x0
	ds_bpermute_b32 v5, v6, v3
	ds_bpermute_b32 v6, v6, v4
	s_wait_dscnt 0x0
	v_add_f64_e32 v[3:4], v[3:4], v[5:6]
	s_wait_alu 0xfffd
	v_cndmask_b32_e64 v5, 0, 1, vcc_lo
	v_cmp_gt_u32_e32 vcc_lo, 4, v7
	s_delay_alu instid0(VALU_DEP_2) | instskip(NEXT) | instid1(VALU_DEP_1)
	v_lshlrev_b32_e32 v5, 1, v5
	v_add_lshl_u32 v6, v5, v131, 2
	ds_bpermute_b32 v5, v6, v3
	ds_bpermute_b32 v6, v6, v4
	s_wait_dscnt 0x0
	v_add_f64_e32 v[3:4], v[3:4], v[5:6]
	s_wait_alu 0xfffd
	v_cndmask_b32_e64 v5, 0, 1, vcc_lo
	s_delay_alu instid0(VALU_DEP_1) | instskip(NEXT) | instid1(VALU_DEP_1)
	v_lshlrev_b32_e32 v5, 2, v5
	v_add_lshl_u32 v6, v5, v131, 2
	ds_bpermute_b32 v5, v6, v3
	ds_bpermute_b32 v6, v6, v4
	s_wait_dscnt 0x0
	v_add_f64_e32 v[3:4], v[3:4], v[5:6]
.LBB15_5:
	s_wait_alu 0xfffe
	s_or_b32 exec_lo, exec_lo, s1
	s_branch .LBB15_156
.LBB15_6:
                                        ; implicit-def: $vgpr3_vgpr4
	s_cbranch_execz .LBB15_156
; %bb.7:
	s_sub_co_i32 s63, s64, s0
	s_mov_b32 s0, exec_lo
                                        ; implicit-def: $vgpr3_vgpr4
	v_cmpx_gt_u32_e64 s63, v0
	s_cbranch_execz .LBB15_9
; %bb.8:
	global_load_b64 v[3:4], v[1:2], off
	s_wait_loadcnt 0x0
	v_and_b32_e32 v4, 0x7fffffff, v4
.LBB15_9:
	s_wait_alu 0xfffe
	s_or_b32 exec_lo, exec_lo, s0
	v_or_b32_e32 v5, 0x100, v0
	s_delay_alu instid0(VALU_DEP_1)
	v_cmp_gt_u32_e32 vcc_lo, s63, v5
                                        ; implicit-def: $vgpr5_vgpr6
	s_and_saveexec_b32 s0, vcc_lo
	s_cbranch_execz .LBB15_11
; %bb.10:
	global_load_b64 v[5:6], v[1:2], off offset:2048
	s_wait_loadcnt 0x0
	v_and_b32_e32 v6, 0x7fffffff, v6
.LBB15_11:
	s_wait_alu 0xfffe
	s_or_b32 exec_lo, exec_lo, s0
	v_or_b32_e32 v7, 0x200, v0
	s_delay_alu instid0(VALU_DEP_1) | instskip(NEXT) | instid1(VALU_DEP_1)
	v_cmp_gt_u32_e64 s0, s63, v7
                                        ; implicit-def: $vgpr7_vgpr8
	s_and_saveexec_b32 s1, s0
	s_cbranch_execz .LBB15_13
; %bb.12:
	global_load_b64 v[7:8], v[1:2], off offset:4096
	s_wait_loadcnt 0x0
	v_and_b32_e32 v8, 0x7fffffff, v8
.LBB15_13:
	s_wait_alu 0xfffe
	s_or_b32 exec_lo, exec_lo, s1
	v_or_b32_e32 v9, 0x300, v0
	s_delay_alu instid0(VALU_DEP_1) | instskip(NEXT) | instid1(VALU_DEP_1)
	v_cmp_gt_u32_e64 s1, s63, v9
                                        ; implicit-def: $vgpr9_vgpr10
	s_and_saveexec_b32 s2, s1
	s_cbranch_execz .LBB15_15
; %bb.14:
	global_load_b64 v[9:10], v[1:2], off offset:6144
	s_wait_loadcnt 0x0
	v_and_b32_e32 v10, 0x7fffffff, v10
.LBB15_15:
	s_wait_alu 0xfffe
	s_or_b32 exec_lo, exec_lo, s2
	v_or_b32_e32 v11, 0x400, v0
	s_delay_alu instid0(VALU_DEP_1) | instskip(NEXT) | instid1(VALU_DEP_1)
	v_cmp_gt_u32_e64 s2, s63, v11
                                        ; implicit-def: $vgpr11_vgpr12
	s_and_saveexec_b32 s3, s2
	s_cbranch_execz .LBB15_17
; %bb.16:
	global_load_b64 v[11:12], v[1:2], off offset:8192
	s_wait_loadcnt 0x0
	v_and_b32_e32 v12, 0x7fffffff, v12
.LBB15_17:
	s_wait_alu 0xfffe
	s_or_b32 exec_lo, exec_lo, s3
	v_or_b32_e32 v13, 0x500, v0
	s_delay_alu instid0(VALU_DEP_1) | instskip(NEXT) | instid1(VALU_DEP_1)
	v_cmp_gt_u32_e64 s3, s63, v13
                                        ; implicit-def: $vgpr13_vgpr14
	s_and_saveexec_b32 s4, s3
	s_cbranch_execz .LBB15_19
; %bb.18:
	global_load_b64 v[13:14], v[1:2], off offset:10240
	s_wait_loadcnt 0x0
	v_and_b32_e32 v14, 0x7fffffff, v14
.LBB15_19:
	s_or_b32 exec_lo, exec_lo, s4
	v_or_b32_e32 v15, 0x600, v0
	s_delay_alu instid0(VALU_DEP_1) | instskip(NEXT) | instid1(VALU_DEP_1)
	v_cmp_gt_u32_e64 s4, s63, v15
                                        ; implicit-def: $vgpr15_vgpr16
	s_and_saveexec_b32 s5, s4
	s_cbranch_execz .LBB15_21
; %bb.20:
	global_load_b64 v[15:16], v[1:2], off offset:12288
	s_wait_loadcnt 0x0
	v_and_b32_e32 v16, 0x7fffffff, v16
.LBB15_21:
	s_or_b32 exec_lo, exec_lo, s5
	v_or_b32_e32 v17, 0x700, v0
	s_delay_alu instid0(VALU_DEP_1) | instskip(NEXT) | instid1(VALU_DEP_1)
	v_cmp_gt_u32_e64 s5, s63, v17
                                        ; implicit-def: $vgpr17_vgpr18
	s_and_saveexec_b32 s6, s5
	s_cbranch_execz .LBB15_23
; %bb.22:
	global_load_b64 v[17:18], v[1:2], off offset:14336
	s_wait_loadcnt 0x0
	v_and_b32_e32 v18, 0x7fffffff, v18
.LBB15_23:
	s_or_b32 exec_lo, exec_lo, s6
	v_or_b32_e32 v19, 0x800, v0
	s_delay_alu instid0(VALU_DEP_1) | instskip(NEXT) | instid1(VALU_DEP_1)
	v_cmp_gt_u32_e64 s6, s63, v19
                                        ; implicit-def: $vgpr19_vgpr20
	s_and_saveexec_b32 s7, s6
	s_cbranch_execz .LBB15_25
; %bb.24:
	global_load_b64 v[19:20], v[1:2], off offset:16384
	s_wait_loadcnt 0x0
	v_and_b32_e32 v20, 0x7fffffff, v20
.LBB15_25:
	s_or_b32 exec_lo, exec_lo, s7
	v_or_b32_e32 v21, 0x900, v0
	s_delay_alu instid0(VALU_DEP_1) | instskip(NEXT) | instid1(VALU_DEP_1)
	v_cmp_gt_u32_e64 s7, s63, v21
                                        ; implicit-def: $vgpr21_vgpr22
	s_and_saveexec_b32 s8, s7
	s_cbranch_execz .LBB15_27
; %bb.26:
	global_load_b64 v[21:22], v[1:2], off offset:18432
	s_wait_loadcnt 0x0
	v_and_b32_e32 v22, 0x7fffffff, v22
.LBB15_27:
	s_or_b32 exec_lo, exec_lo, s8
	v_or_b32_e32 v23, 0xa00, v0
	s_delay_alu instid0(VALU_DEP_1) | instskip(NEXT) | instid1(VALU_DEP_1)
	v_cmp_gt_u32_e64 s8, s63, v23
                                        ; implicit-def: $vgpr23_vgpr24
	s_and_saveexec_b32 s9, s8
	s_cbranch_execz .LBB15_29
; %bb.28:
	global_load_b64 v[23:24], v[1:2], off offset:20480
	s_wait_loadcnt 0x0
	v_and_b32_e32 v24, 0x7fffffff, v24
.LBB15_29:
	s_or_b32 exec_lo, exec_lo, s9
	v_or_b32_e32 v25, 0xb00, v0
	s_delay_alu instid0(VALU_DEP_1) | instskip(NEXT) | instid1(VALU_DEP_1)
	v_cmp_gt_u32_e64 s9, s63, v25
                                        ; implicit-def: $vgpr25_vgpr26
	s_and_saveexec_b32 s10, s9
	s_cbranch_execz .LBB15_31
; %bb.30:
	global_load_b64 v[25:26], v[1:2], off offset:22528
	s_wait_loadcnt 0x0
	v_and_b32_e32 v26, 0x7fffffff, v26
.LBB15_31:
	s_or_b32 exec_lo, exec_lo, s10
	v_or_b32_e32 v27, 0xc00, v0
	s_delay_alu instid0(VALU_DEP_1) | instskip(NEXT) | instid1(VALU_DEP_1)
	v_cmp_gt_u32_e64 s10, s63, v27
                                        ; implicit-def: $vgpr27_vgpr28
	s_and_saveexec_b32 s11, s10
	s_cbranch_execz .LBB15_33
; %bb.32:
	global_load_b64 v[27:28], v[1:2], off offset:24576
	s_wait_loadcnt 0x0
	v_and_b32_e32 v28, 0x7fffffff, v28
.LBB15_33:
	s_or_b32 exec_lo, exec_lo, s11
	v_or_b32_e32 v29, 0xd00, v0
	s_delay_alu instid0(VALU_DEP_1) | instskip(NEXT) | instid1(VALU_DEP_1)
	v_cmp_gt_u32_e64 s11, s63, v29
                                        ; implicit-def: $vgpr29_vgpr30
	s_and_saveexec_b32 s12, s11
	s_cbranch_execz .LBB15_35
; %bb.34:
	global_load_b64 v[29:30], v[1:2], off offset:26624
	s_wait_loadcnt 0x0
	v_and_b32_e32 v30, 0x7fffffff, v30
.LBB15_35:
	s_or_b32 exec_lo, exec_lo, s12
	v_or_b32_e32 v31, 0xe00, v0
	s_delay_alu instid0(VALU_DEP_1) | instskip(NEXT) | instid1(VALU_DEP_1)
	v_cmp_gt_u32_e64 s12, s63, v31
                                        ; implicit-def: $vgpr31_vgpr32
	s_and_saveexec_b32 s13, s12
	s_cbranch_execz .LBB15_37
; %bb.36:
	global_load_b64 v[31:32], v[1:2], off offset:28672
	s_wait_loadcnt 0x0
	v_and_b32_e32 v32, 0x7fffffff, v32
.LBB15_37:
	s_or_b32 exec_lo, exec_lo, s13
	v_or_b32_e32 v33, 0xf00, v0
	s_delay_alu instid0(VALU_DEP_1) | instskip(NEXT) | instid1(VALU_DEP_1)
	v_cmp_gt_u32_e64 s13, s63, v33
                                        ; implicit-def: $vgpr33_vgpr34
	s_and_saveexec_b32 s14, s13
	s_cbranch_execz .LBB15_39
; %bb.38:
	global_load_b64 v[33:34], v[1:2], off offset:30720
	s_wait_loadcnt 0x0
	v_and_b32_e32 v34, 0x7fffffff, v34
.LBB15_39:
	s_or_b32 exec_lo, exec_lo, s14
	v_or_b32_e32 v35, 0x1000, v0
	s_delay_alu instid0(VALU_DEP_1) | instskip(NEXT) | instid1(VALU_DEP_1)
	v_cmp_gt_u32_e64 s14, s63, v35
                                        ; implicit-def: $vgpr35_vgpr36
	s_and_saveexec_b32 s15, s14
	s_cbranch_execz .LBB15_41
; %bb.40:
	global_load_b64 v[35:36], v[1:2], off offset:32768
	s_wait_loadcnt 0x0
	v_and_b32_e32 v36, 0x7fffffff, v36
.LBB15_41:
	s_or_b32 exec_lo, exec_lo, s15
	v_or_b32_e32 v37, 0x1100, v0
	s_delay_alu instid0(VALU_DEP_1) | instskip(NEXT) | instid1(VALU_DEP_1)
	v_cmp_gt_u32_e64 s15, s63, v37
                                        ; implicit-def: $vgpr37_vgpr38
	s_and_saveexec_b32 s16, s15
	s_cbranch_execz .LBB15_43
; %bb.42:
	global_load_b64 v[37:38], v[1:2], off offset:34816
	s_wait_loadcnt 0x0
	v_and_b32_e32 v38, 0x7fffffff, v38
.LBB15_43:
	s_or_b32 exec_lo, exec_lo, s16
	v_or_b32_e32 v39, 0x1200, v0
	s_delay_alu instid0(VALU_DEP_1) | instskip(NEXT) | instid1(VALU_DEP_1)
	v_cmp_gt_u32_e64 s16, s63, v39
                                        ; implicit-def: $vgpr39_vgpr40
	s_and_saveexec_b32 s17, s16
	s_cbranch_execz .LBB15_45
; %bb.44:
	global_load_b64 v[39:40], v[1:2], off offset:36864
	s_wait_loadcnt 0x0
	v_and_b32_e32 v40, 0x7fffffff, v40
.LBB15_45:
	s_or_b32 exec_lo, exec_lo, s17
	v_or_b32_e32 v41, 0x1300, v0
	s_delay_alu instid0(VALU_DEP_1) | instskip(NEXT) | instid1(VALU_DEP_1)
	v_cmp_gt_u32_e64 s17, s63, v41
                                        ; implicit-def: $vgpr41_vgpr42
	s_and_saveexec_b32 s18, s17
	s_cbranch_execz .LBB15_47
; %bb.46:
	global_load_b64 v[41:42], v[1:2], off offset:38912
	s_wait_loadcnt 0x0
	v_and_b32_e32 v42, 0x7fffffff, v42
.LBB15_47:
	s_or_b32 exec_lo, exec_lo, s18
	v_or_b32_e32 v43, 0x1400, v0
	s_delay_alu instid0(VALU_DEP_1) | instskip(NEXT) | instid1(VALU_DEP_1)
	v_cmp_gt_u32_e64 s18, s63, v43
                                        ; implicit-def: $vgpr43_vgpr44
	s_and_saveexec_b32 s19, s18
	s_cbranch_execz .LBB15_49
; %bb.48:
	global_load_b64 v[43:44], v[1:2], off offset:40960
	s_wait_loadcnt 0x0
	v_and_b32_e32 v44, 0x7fffffff, v44
.LBB15_49:
	s_or_b32 exec_lo, exec_lo, s19
	v_or_b32_e32 v45, 0x1500, v0
	s_delay_alu instid0(VALU_DEP_1) | instskip(NEXT) | instid1(VALU_DEP_1)
	v_cmp_gt_u32_e64 s19, s63, v45
                                        ; implicit-def: $vgpr45_vgpr46
	s_and_saveexec_b32 s20, s19
	s_cbranch_execz .LBB15_51
; %bb.50:
	global_load_b64 v[45:46], v[1:2], off offset:43008
	s_wait_loadcnt 0x0
	v_and_b32_e32 v46, 0x7fffffff, v46
.LBB15_51:
	s_or_b32 exec_lo, exec_lo, s20
	v_or_b32_e32 v47, 0x1600, v0
	s_delay_alu instid0(VALU_DEP_1) | instskip(NEXT) | instid1(VALU_DEP_1)
	v_cmp_gt_u32_e64 s20, s63, v47
                                        ; implicit-def: $vgpr47_vgpr48
	s_and_saveexec_b32 s21, s20
	s_cbranch_execz .LBB15_53
; %bb.52:
	global_load_b64 v[47:48], v[1:2], off offset:45056
	s_wait_loadcnt 0x0
	v_and_b32_e32 v48, 0x7fffffff, v48
.LBB15_53:
	s_or_b32 exec_lo, exec_lo, s21
	v_or_b32_e32 v49, 0x1700, v0
	s_delay_alu instid0(VALU_DEP_1) | instskip(NEXT) | instid1(VALU_DEP_1)
	v_cmp_gt_u32_e64 s21, s63, v49
                                        ; implicit-def: $vgpr49_vgpr50
	s_and_saveexec_b32 s22, s21
	s_cbranch_execz .LBB15_55
; %bb.54:
	global_load_b64 v[49:50], v[1:2], off offset:47104
	s_wait_loadcnt 0x0
	v_and_b32_e32 v50, 0x7fffffff, v50
.LBB15_55:
	s_or_b32 exec_lo, exec_lo, s22
	v_or_b32_e32 v51, 0x1800, v0
	s_delay_alu instid0(VALU_DEP_1) | instskip(NEXT) | instid1(VALU_DEP_1)
	v_cmp_gt_u32_e64 s22, s63, v51
                                        ; implicit-def: $vgpr51_vgpr52
	s_and_saveexec_b32 s23, s22
	s_cbranch_execz .LBB15_57
; %bb.56:
	global_load_b64 v[51:52], v[1:2], off offset:49152
	s_wait_loadcnt 0x0
	v_and_b32_e32 v52, 0x7fffffff, v52
.LBB15_57:
	s_or_b32 exec_lo, exec_lo, s23
	v_or_b32_e32 v53, 0x1900, v0
	s_delay_alu instid0(VALU_DEP_1) | instskip(NEXT) | instid1(VALU_DEP_1)
	v_cmp_gt_u32_e64 s23, s63, v53
                                        ; implicit-def: $vgpr53_vgpr54
	s_and_saveexec_b32 s24, s23
	s_cbranch_execz .LBB15_59
; %bb.58:
	global_load_b64 v[53:54], v[1:2], off offset:51200
	s_wait_loadcnt 0x0
	v_and_b32_e32 v54, 0x7fffffff, v54
.LBB15_59:
	s_or_b32 exec_lo, exec_lo, s24
	v_or_b32_e32 v55, 0x1a00, v0
	s_delay_alu instid0(VALU_DEP_1) | instskip(NEXT) | instid1(VALU_DEP_1)
	v_cmp_gt_u32_e64 s24, s63, v55
                                        ; implicit-def: $vgpr55_vgpr56
	s_and_saveexec_b32 s25, s24
	s_cbranch_execz .LBB15_61
; %bb.60:
	global_load_b64 v[55:56], v[1:2], off offset:53248
	s_wait_loadcnt 0x0
	v_and_b32_e32 v56, 0x7fffffff, v56
.LBB15_61:
	s_or_b32 exec_lo, exec_lo, s25
	v_or_b32_e32 v57, 0x1b00, v0
	s_delay_alu instid0(VALU_DEP_1) | instskip(NEXT) | instid1(VALU_DEP_1)
	v_cmp_gt_u32_e64 s25, s63, v57
                                        ; implicit-def: $vgpr57_vgpr58
	s_and_saveexec_b32 s26, s25
	s_cbranch_execz .LBB15_63
; %bb.62:
	global_load_b64 v[57:58], v[1:2], off offset:55296
	s_wait_loadcnt 0x0
	v_and_b32_e32 v58, 0x7fffffff, v58
.LBB15_63:
	s_or_b32 exec_lo, exec_lo, s26
	v_or_b32_e32 v59, 0x1c00, v0
	s_delay_alu instid0(VALU_DEP_1) | instskip(NEXT) | instid1(VALU_DEP_1)
	v_cmp_gt_u32_e64 s26, s63, v59
                                        ; implicit-def: $vgpr59_vgpr60
	s_and_saveexec_b32 s27, s26
	s_cbranch_execz .LBB15_65
; %bb.64:
	global_load_b64 v[59:60], v[1:2], off offset:57344
	s_wait_loadcnt 0x0
	v_and_b32_e32 v60, 0x7fffffff, v60
.LBB15_65:
	s_or_b32 exec_lo, exec_lo, s27
	v_or_b32_e32 v61, 0x1d00, v0
	s_delay_alu instid0(VALU_DEP_1) | instskip(NEXT) | instid1(VALU_DEP_1)
	v_cmp_gt_u32_e64 s27, s63, v61
                                        ; implicit-def: $vgpr61_vgpr62
	s_and_saveexec_b32 s28, s27
	s_cbranch_execz .LBB15_67
; %bb.66:
	global_load_b64 v[61:62], v[1:2], off offset:59392
	s_wait_loadcnt 0x0
	v_and_b32_e32 v62, 0x7fffffff, v62
.LBB15_67:
	s_or_b32 exec_lo, exec_lo, s28
	v_or_b32_e32 v63, 0x1e00, v0
	s_delay_alu instid0(VALU_DEP_1) | instskip(NEXT) | instid1(VALU_DEP_1)
	v_cmp_gt_u32_e64 s28, s63, v63
                                        ; implicit-def: $vgpr63_vgpr64
	s_and_saveexec_b32 s29, s28
	s_cbranch_execz .LBB15_69
; %bb.68:
	global_load_b64 v[63:64], v[1:2], off offset:61440
	s_wait_loadcnt 0x0
	v_and_b32_e32 v64, 0x7fffffff, v64
.LBB15_69:
	s_or_b32 exec_lo, exec_lo, s29
	v_or_b32_e32 v65, 0x1f00, v0
	s_delay_alu instid0(VALU_DEP_1) | instskip(NEXT) | instid1(VALU_DEP_1)
	v_cmp_gt_u32_e64 s29, s63, v65
                                        ; implicit-def: $vgpr65_vgpr66
	s_and_saveexec_b32 s30, s29
	s_cbranch_execz .LBB15_71
; %bb.70:
	global_load_b64 v[65:66], v[1:2], off offset:63488
	s_wait_loadcnt 0x0
	v_and_b32_e32 v66, 0x7fffffff, v66
.LBB15_71:
	s_or_b32 exec_lo, exec_lo, s30
	v_or_b32_e32 v67, 0x2000, v0
	s_delay_alu instid0(VALU_DEP_1) | instskip(NEXT) | instid1(VALU_DEP_1)
	v_cmp_gt_u32_e64 s30, s63, v67
                                        ; implicit-def: $vgpr67_vgpr68
	s_and_saveexec_b32 s31, s30
	s_cbranch_execz .LBB15_73
; %bb.72:
	global_load_b64 v[67:68], v[1:2], off offset:65536
	s_wait_loadcnt 0x0
	v_and_b32_e32 v68, 0x7fffffff, v68
.LBB15_73:
	s_or_b32 exec_lo, exec_lo, s31
	v_or_b32_e32 v69, 0x2100, v0
	s_delay_alu instid0(VALU_DEP_1) | instskip(NEXT) | instid1(VALU_DEP_1)
	v_cmp_gt_u32_e64 s31, s63, v69
                                        ; implicit-def: $vgpr69_vgpr70
	s_and_saveexec_b32 s33, s31
	s_cbranch_execz .LBB15_75
; %bb.74:
	global_load_b64 v[69:70], v[1:2], off offset:67584
	s_wait_loadcnt 0x0
	v_and_b32_e32 v70, 0x7fffffff, v70
.LBB15_75:
	s_or_b32 exec_lo, exec_lo, s33
	v_or_b32_e32 v71, 0x2200, v0
	s_delay_alu instid0(VALU_DEP_1) | instskip(NEXT) | instid1(VALU_DEP_1)
	v_cmp_gt_u32_e64 s33, s63, v71
                                        ; implicit-def: $vgpr71_vgpr72
	s_and_saveexec_b32 s34, s33
	s_cbranch_execz .LBB15_77
; %bb.76:
	global_load_b64 v[71:72], v[1:2], off offset:69632
	s_wait_loadcnt 0x0
	v_and_b32_e32 v72, 0x7fffffff, v72
.LBB15_77:
	s_or_b32 exec_lo, exec_lo, s34
	v_or_b32_e32 v73, 0x2300, v0
	s_delay_alu instid0(VALU_DEP_1) | instskip(NEXT) | instid1(VALU_DEP_1)
	v_cmp_gt_u32_e64 s34, s63, v73
                                        ; implicit-def: $vgpr73_vgpr74
	s_and_saveexec_b32 s35, s34
	s_cbranch_execz .LBB15_79
; %bb.78:
	global_load_b64 v[73:74], v[1:2], off offset:71680
	s_wait_loadcnt 0x0
	v_and_b32_e32 v74, 0x7fffffff, v74
.LBB15_79:
	s_or_b32 exec_lo, exec_lo, s35
	v_or_b32_e32 v75, 0x2400, v0
	s_delay_alu instid0(VALU_DEP_1) | instskip(NEXT) | instid1(VALU_DEP_1)
	v_cmp_gt_u32_e64 s35, s63, v75
                                        ; implicit-def: $vgpr75_vgpr76
	s_and_saveexec_b32 s36, s35
	s_cbranch_execz .LBB15_81
; %bb.80:
	global_load_b64 v[75:76], v[1:2], off offset:73728
	s_wait_loadcnt 0x0
	v_and_b32_e32 v76, 0x7fffffff, v76
.LBB15_81:
	s_or_b32 exec_lo, exec_lo, s36
	v_or_b32_e32 v77, 0x2500, v0
	s_delay_alu instid0(VALU_DEP_1) | instskip(NEXT) | instid1(VALU_DEP_1)
	v_cmp_gt_u32_e64 s36, s63, v77
                                        ; implicit-def: $vgpr77_vgpr78
	s_and_saveexec_b32 s37, s36
	s_cbranch_execz .LBB15_83
; %bb.82:
	global_load_b64 v[77:78], v[1:2], off offset:75776
	s_wait_loadcnt 0x0
	v_and_b32_e32 v78, 0x7fffffff, v78
.LBB15_83:
	s_or_b32 exec_lo, exec_lo, s37
	v_or_b32_e32 v79, 0x2600, v0
	s_delay_alu instid0(VALU_DEP_1) | instskip(NEXT) | instid1(VALU_DEP_1)
	v_cmp_gt_u32_e64 s37, s63, v79
                                        ; implicit-def: $vgpr79_vgpr80
	s_and_saveexec_b32 s38, s37
	s_cbranch_execz .LBB15_85
; %bb.84:
	global_load_b64 v[79:80], v[1:2], off offset:77824
	s_wait_loadcnt 0x0
	v_and_b32_e32 v80, 0x7fffffff, v80
.LBB15_85:
	s_or_b32 exec_lo, exec_lo, s38
	v_or_b32_e32 v81, 0x2700, v0
	s_delay_alu instid0(VALU_DEP_1) | instskip(NEXT) | instid1(VALU_DEP_1)
	v_cmp_gt_u32_e64 s38, s63, v81
                                        ; implicit-def: $vgpr81_vgpr82
	s_and_saveexec_b32 s39, s38
	s_cbranch_execz .LBB15_87
; %bb.86:
	global_load_b64 v[81:82], v[1:2], off offset:79872
	s_wait_loadcnt 0x0
	v_and_b32_e32 v82, 0x7fffffff, v82
.LBB15_87:
	s_or_b32 exec_lo, exec_lo, s39
	v_or_b32_e32 v83, 0x2800, v0
	s_delay_alu instid0(VALU_DEP_1) | instskip(NEXT) | instid1(VALU_DEP_1)
	v_cmp_gt_u32_e64 s39, s63, v83
                                        ; implicit-def: $vgpr83_vgpr84
	s_and_saveexec_b32 s40, s39
	s_cbranch_execz .LBB15_89
; %bb.88:
	global_load_b64 v[83:84], v[1:2], off offset:81920
	s_wait_loadcnt 0x0
	v_and_b32_e32 v84, 0x7fffffff, v84
.LBB15_89:
	s_or_b32 exec_lo, exec_lo, s40
	v_or_b32_e32 v85, 0x2900, v0
	s_delay_alu instid0(VALU_DEP_1) | instskip(NEXT) | instid1(VALU_DEP_1)
	v_cmp_gt_u32_e64 s40, s63, v85
                                        ; implicit-def: $vgpr85_vgpr86
	s_and_saveexec_b32 s41, s40
	s_cbranch_execz .LBB15_91
; %bb.90:
	global_load_b64 v[85:86], v[1:2], off offset:83968
	s_wait_loadcnt 0x0
	v_and_b32_e32 v86, 0x7fffffff, v86
.LBB15_91:
	s_or_b32 exec_lo, exec_lo, s41
	v_or_b32_e32 v87, 0x2a00, v0
	s_delay_alu instid0(VALU_DEP_1) | instskip(NEXT) | instid1(VALU_DEP_1)
	v_cmp_gt_u32_e64 s41, s63, v87
                                        ; implicit-def: $vgpr87_vgpr88
	s_and_saveexec_b32 s42, s41
	s_cbranch_execz .LBB15_93
; %bb.92:
	global_load_b64 v[87:88], v[1:2], off offset:86016
	s_wait_loadcnt 0x0
	v_and_b32_e32 v88, 0x7fffffff, v88
.LBB15_93:
	s_or_b32 exec_lo, exec_lo, s42
	v_or_b32_e32 v89, 0x2b00, v0
	s_delay_alu instid0(VALU_DEP_1) | instskip(NEXT) | instid1(VALU_DEP_1)
	v_cmp_gt_u32_e64 s42, s63, v89
                                        ; implicit-def: $vgpr89_vgpr90
	s_and_saveexec_b32 s43, s42
	s_cbranch_execz .LBB15_95
; %bb.94:
	global_load_b64 v[89:90], v[1:2], off offset:88064
	s_wait_loadcnt 0x0
	v_and_b32_e32 v90, 0x7fffffff, v90
.LBB15_95:
	s_or_b32 exec_lo, exec_lo, s43
	v_or_b32_e32 v91, 0x2c00, v0
	s_delay_alu instid0(VALU_DEP_1) | instskip(NEXT) | instid1(VALU_DEP_1)
	v_cmp_gt_u32_e64 s43, s63, v91
                                        ; implicit-def: $vgpr91_vgpr92
	s_and_saveexec_b32 s44, s43
	s_cbranch_execz .LBB15_97
; %bb.96:
	global_load_b64 v[91:92], v[1:2], off offset:90112
	s_wait_loadcnt 0x0
	v_and_b32_e32 v92, 0x7fffffff, v92
.LBB15_97:
	s_or_b32 exec_lo, exec_lo, s44
	v_or_b32_e32 v93, 0x2d00, v0
	s_delay_alu instid0(VALU_DEP_1) | instskip(NEXT) | instid1(VALU_DEP_1)
	v_cmp_gt_u32_e64 s44, s63, v93
                                        ; implicit-def: $vgpr93_vgpr94
	s_and_saveexec_b32 s45, s44
	s_cbranch_execz .LBB15_99
; %bb.98:
	global_load_b64 v[93:94], v[1:2], off offset:92160
	s_wait_loadcnt 0x0
	v_and_b32_e32 v94, 0x7fffffff, v94
.LBB15_99:
	s_or_b32 exec_lo, exec_lo, s45
	v_or_b32_e32 v95, 0x2e00, v0
	s_delay_alu instid0(VALU_DEP_1) | instskip(NEXT) | instid1(VALU_DEP_1)
	v_cmp_gt_u32_e64 s45, s63, v95
                                        ; implicit-def: $vgpr95_vgpr96
	s_and_saveexec_b32 s46, s45
	s_cbranch_execz .LBB15_101
; %bb.100:
	global_load_b64 v[95:96], v[1:2], off offset:94208
	s_wait_loadcnt 0x0
	v_and_b32_e32 v96, 0x7fffffff, v96
.LBB15_101:
	s_or_b32 exec_lo, exec_lo, s46
	v_or_b32_e32 v97, 0x2f00, v0
	s_delay_alu instid0(VALU_DEP_1) | instskip(NEXT) | instid1(VALU_DEP_1)
	v_cmp_gt_u32_e64 s46, s63, v97
                                        ; implicit-def: $vgpr97_vgpr98
	s_and_saveexec_b32 s47, s46
	s_cbranch_execz .LBB15_103
; %bb.102:
	global_load_b64 v[97:98], v[1:2], off offset:96256
	s_wait_loadcnt 0x0
	v_and_b32_e32 v98, 0x7fffffff, v98
.LBB15_103:
	s_or_b32 exec_lo, exec_lo, s47
	v_or_b32_e32 v99, 0x3000, v0
	s_delay_alu instid0(VALU_DEP_1) | instskip(NEXT) | instid1(VALU_DEP_1)
	v_cmp_gt_u32_e64 s47, s63, v99
                                        ; implicit-def: $vgpr99_vgpr100
	s_and_saveexec_b32 s48, s47
	s_cbranch_execz .LBB15_105
; %bb.104:
	global_load_b64 v[99:100], v[1:2], off offset:98304
	s_wait_loadcnt 0x0
	v_and_b32_e32 v100, 0x7fffffff, v100
.LBB15_105:
	s_or_b32 exec_lo, exec_lo, s48
	v_or_b32_e32 v101, 0x3100, v0
	s_delay_alu instid0(VALU_DEP_1) | instskip(NEXT) | instid1(VALU_DEP_1)
	v_cmp_gt_u32_e64 s48, s63, v101
                                        ; implicit-def: $vgpr101_vgpr102
	s_and_saveexec_b32 s49, s48
	s_cbranch_execz .LBB15_107
; %bb.106:
	global_load_b64 v[101:102], v[1:2], off offset:100352
	s_wait_loadcnt 0x0
	v_and_b32_e32 v102, 0x7fffffff, v102
.LBB15_107:
	s_or_b32 exec_lo, exec_lo, s49
	v_or_b32_e32 v103, 0x3200, v0
	s_delay_alu instid0(VALU_DEP_1) | instskip(NEXT) | instid1(VALU_DEP_1)
	v_cmp_gt_u32_e64 s49, s63, v103
                                        ; implicit-def: $vgpr103_vgpr104
	s_and_saveexec_b32 s50, s49
	s_cbranch_execz .LBB15_109
; %bb.108:
	global_load_b64 v[103:104], v[1:2], off offset:102400
	s_wait_loadcnt 0x0
	v_and_b32_e32 v104, 0x7fffffff, v104
.LBB15_109:
	s_or_b32 exec_lo, exec_lo, s50
	v_or_b32_e32 v105, 0x3300, v0
	s_delay_alu instid0(VALU_DEP_1) | instskip(NEXT) | instid1(VALU_DEP_1)
	v_cmp_gt_u32_e64 s50, s63, v105
                                        ; implicit-def: $vgpr105_vgpr106
	s_and_saveexec_b32 s51, s50
	s_cbranch_execz .LBB15_111
; %bb.110:
	global_load_b64 v[105:106], v[1:2], off offset:104448
	s_wait_loadcnt 0x0
	v_and_b32_e32 v106, 0x7fffffff, v106
.LBB15_111:
	s_or_b32 exec_lo, exec_lo, s51
	v_or_b32_e32 v107, 0x3400, v0
	s_delay_alu instid0(VALU_DEP_1) | instskip(NEXT) | instid1(VALU_DEP_1)
	v_cmp_gt_u32_e64 s51, s63, v107
                                        ; implicit-def: $vgpr107_vgpr108
	s_and_saveexec_b32 s52, s51
	s_cbranch_execz .LBB15_113
; %bb.112:
	global_load_b64 v[107:108], v[1:2], off offset:106496
	s_wait_loadcnt 0x0
	v_and_b32_e32 v108, 0x7fffffff, v108
.LBB15_113:
	s_or_b32 exec_lo, exec_lo, s52
	v_or_b32_e32 v109, 0x3500, v0
	s_delay_alu instid0(VALU_DEP_1) | instskip(NEXT) | instid1(VALU_DEP_1)
	v_cmp_gt_u32_e64 s52, s63, v109
                                        ; implicit-def: $vgpr109_vgpr110
	s_and_saveexec_b32 s53, s52
	s_cbranch_execz .LBB15_115
; %bb.114:
	global_load_b64 v[109:110], v[1:2], off offset:108544
	s_wait_loadcnt 0x0
	v_and_b32_e32 v110, 0x7fffffff, v110
.LBB15_115:
	s_or_b32 exec_lo, exec_lo, s53
	v_or_b32_e32 v111, 0x3600, v0
	s_delay_alu instid0(VALU_DEP_1) | instskip(NEXT) | instid1(VALU_DEP_1)
	v_cmp_gt_u32_e64 s53, s63, v111
                                        ; implicit-def: $vgpr111_vgpr112
	s_and_saveexec_b32 s54, s53
	s_cbranch_execz .LBB15_117
; %bb.116:
	global_load_b64 v[111:112], v[1:2], off offset:110592
	s_wait_loadcnt 0x0
	v_and_b32_e32 v112, 0x7fffffff, v112
.LBB15_117:
	s_or_b32 exec_lo, exec_lo, s54
	v_or_b32_e32 v113, 0x3700, v0
	s_delay_alu instid0(VALU_DEP_1) | instskip(NEXT) | instid1(VALU_DEP_1)
	v_cmp_gt_u32_e64 s54, s63, v113
                                        ; implicit-def: $vgpr113_vgpr114
	s_and_saveexec_b32 s55, s54
	s_cbranch_execz .LBB15_119
; %bb.118:
	global_load_b64 v[113:114], v[1:2], off offset:112640
	s_wait_loadcnt 0x0
	v_and_b32_e32 v114, 0x7fffffff, v114
.LBB15_119:
	s_or_b32 exec_lo, exec_lo, s55
	v_or_b32_e32 v115, 0x3800, v0
	s_delay_alu instid0(VALU_DEP_1) | instskip(NEXT) | instid1(VALU_DEP_1)
	v_cmp_gt_u32_e64 s55, s63, v115
                                        ; implicit-def: $vgpr115_vgpr116
	s_and_saveexec_b32 s56, s55
	s_cbranch_execz .LBB15_121
; %bb.120:
	global_load_b64 v[115:116], v[1:2], off offset:114688
	s_wait_loadcnt 0x0
	v_and_b32_e32 v116, 0x7fffffff, v116
.LBB15_121:
	s_or_b32 exec_lo, exec_lo, s56
	v_or_b32_e32 v117, 0x3900, v0
	s_delay_alu instid0(VALU_DEP_1) | instskip(NEXT) | instid1(VALU_DEP_1)
	v_cmp_gt_u32_e64 s56, s63, v117
                                        ; implicit-def: $vgpr117_vgpr118
	s_and_saveexec_b32 s57, s56
	s_cbranch_execz .LBB15_123
; %bb.122:
	global_load_b64 v[117:118], v[1:2], off offset:116736
	s_wait_loadcnt 0x0
	v_and_b32_e32 v118, 0x7fffffff, v118
.LBB15_123:
	s_or_b32 exec_lo, exec_lo, s57
	v_or_b32_e32 v119, 0x3a00, v0
	s_delay_alu instid0(VALU_DEP_1) | instskip(NEXT) | instid1(VALU_DEP_1)
	v_cmp_gt_u32_e64 s57, s63, v119
                                        ; implicit-def: $vgpr119_vgpr120
	s_and_saveexec_b32 s58, s57
	s_cbranch_execz .LBB15_125
; %bb.124:
	global_load_b64 v[119:120], v[1:2], off offset:118784
	s_wait_loadcnt 0x0
	v_and_b32_e32 v120, 0x7fffffff, v120
.LBB15_125:
	s_or_b32 exec_lo, exec_lo, s58
	v_or_b32_e32 v121, 0x3b00, v0
	s_delay_alu instid0(VALU_DEP_1) | instskip(NEXT) | instid1(VALU_DEP_1)
	v_cmp_gt_u32_e64 s58, s63, v121
                                        ; implicit-def: $vgpr121_vgpr122
	s_and_saveexec_b32 s59, s58
	s_cbranch_execz .LBB15_127
; %bb.126:
	global_load_b64 v[121:122], v[1:2], off offset:120832
	s_wait_loadcnt 0x0
	v_and_b32_e32 v122, 0x7fffffff, v122
.LBB15_127:
	s_or_b32 exec_lo, exec_lo, s59
	v_or_b32_e32 v123, 0x3c00, v0
	s_delay_alu instid0(VALU_DEP_1) | instskip(NEXT) | instid1(VALU_DEP_1)
	v_cmp_gt_u32_e64 s59, s63, v123
                                        ; implicit-def: $vgpr123_vgpr124
	s_and_saveexec_b32 s60, s59
	s_cbranch_execz .LBB15_129
; %bb.128:
	global_load_b64 v[123:124], v[1:2], off offset:122880
	s_wait_loadcnt 0x0
	v_and_b32_e32 v124, 0x7fffffff, v124
.LBB15_129:
	s_or_b32 exec_lo, exec_lo, s60
	v_or_b32_e32 v125, 0x3d00, v0
	s_delay_alu instid0(VALU_DEP_1) | instskip(NEXT) | instid1(VALU_DEP_1)
	v_cmp_gt_u32_e64 s60, s63, v125
                                        ; implicit-def: $vgpr125_vgpr126
	s_and_saveexec_b32 s61, s60
	s_cbranch_execz .LBB15_131
; %bb.130:
	global_load_b64 v[125:126], v[1:2], off offset:124928
	s_wait_loadcnt 0x0
	v_and_b32_e32 v126, 0x7fffffff, v126
.LBB15_131:
	s_or_b32 exec_lo, exec_lo, s61
	v_or_b32_e32 v127, 0x3e00, v0
	s_delay_alu instid0(VALU_DEP_1) | instskip(NEXT) | instid1(VALU_DEP_1)
	v_cmp_gt_u32_e64 s61, s63, v127
                                        ; implicit-def: $vgpr127_vgpr128
	s_and_saveexec_b32 s62, s61
	s_cbranch_execz .LBB15_133
; %bb.132:
	global_load_b64 v[127:128], v[1:2], off offset:126976
	s_wait_loadcnt 0x0
	v_and_b32_e32 v128, 0x7fffffff, v128
.LBB15_133:
	s_wait_alu 0xfffe
	s_or_b32 exec_lo, exec_lo, s62
	v_or_b32_e32 v129, 0x3f00, v0
	s_delay_alu instid0(VALU_DEP_1) | instskip(NEXT) | instid1(VALU_DEP_1)
	v_cmp_gt_u32_e64 s62, s63, v129
                                        ; implicit-def: $vgpr129_vgpr130
	s_and_saveexec_b32 s72, s62
	s_cbranch_execz .LBB15_135
; %bb.134:
	global_load_b64 v[129:130], v[1:2], off offset:129024
	s_wait_loadcnt 0x0
	v_and_b32_e32 v130, 0x7fffffff, v130
.LBB15_135:
	s_or_b32 exec_lo, exec_lo, s72
	v_add_f64_e32 v[1:2], v[3:4], v[5:6]
	v_add_nc_u32_e32 v6, 1, v131
	s_delay_alu instid0(VALU_DEP_2) | instskip(SKIP_1) | instid1(VALU_DEP_2)
	v_dual_cndmask_b32 v2, v4, v2 :: v_dual_cndmask_b32 v1, v3, v1
	v_cmp_ne_u32_e32 vcc_lo, 31, v131
	v_add_f64_e32 v[3:4], v[1:2], v[7:8]
	s_wait_alu 0xfffd
	v_add_co_ci_u32_e32 v5, vcc_lo, 0, v131, vcc_lo
	s_delay_alu instid0(VALU_DEP_1) | instskip(NEXT) | instid1(VALU_DEP_3)
	v_lshlrev_b32_e32 v5, 2, v5
	v_cndmask_b32_e64 v2, v2, v4, s0
	s_delay_alu instid0(VALU_DEP_4) | instskip(SKIP_1) | instid1(VALU_DEP_1)
	v_cndmask_b32_e64 v1, v1, v3, s0
	s_min_u32 s0, s63, 0x100
	v_add_f64_e32 v[3:4], v[1:2], v[9:10]
	s_delay_alu instid0(VALU_DEP_1) | instskip(NEXT) | instid1(VALU_DEP_2)
	v_cndmask_b32_e64 v2, v2, v4, s1
	v_cndmask_b32_e64 v1, v1, v3, s1
	s_mov_b32 s1, exec_lo
	s_delay_alu instid0(VALU_DEP_1) | instskip(NEXT) | instid1(VALU_DEP_1)
	v_add_f64_e32 v[3:4], v[1:2], v[11:12]
	v_cndmask_b32_e64 v2, v2, v4, s2
	s_delay_alu instid0(VALU_DEP_2) | instskip(NEXT) | instid1(VALU_DEP_1)
	v_cndmask_b32_e64 v1, v1, v3, s2
	v_add_f64_e32 v[3:4], v[1:2], v[13:14]
	s_delay_alu instid0(VALU_DEP_1) | instskip(NEXT) | instid1(VALU_DEP_2)
	v_cndmask_b32_e64 v2, v2, v4, s3
	v_cndmask_b32_e64 v1, v1, v3, s3
	s_delay_alu instid0(VALU_DEP_1) | instskip(NEXT) | instid1(VALU_DEP_1)
	v_add_f64_e32 v[3:4], v[1:2], v[15:16]
	v_cndmask_b32_e64 v2, v2, v4, s4
	s_delay_alu instid0(VALU_DEP_2) | instskip(NEXT) | instid1(VALU_DEP_1)
	v_cndmask_b32_e64 v1, v1, v3, s4
	v_add_f64_e32 v[3:4], v[1:2], v[17:18]
	s_delay_alu instid0(VALU_DEP_1) | instskip(NEXT) | instid1(VALU_DEP_2)
	v_cndmask_b32_e64 v2, v2, v4, s5
	v_cndmask_b32_e64 v1, v1, v3, s5
	;; [unrolled: 9-line block ×30, first 2 shown]
	ds_bpermute_b32 v1, v5, v3
	ds_bpermute_b32 v2, v5, v4
	v_and_b32_e32 v5, 0xe0, v0
	s_wait_alu 0xfffe
	s_delay_alu instid0(VALU_DEP_1) | instskip(NEXT) | instid1(VALU_DEP_1)
	v_sub_nc_u32_e64 v5, s0, v5 clamp
	v_cmpx_lt_u32_e64 v6, v5
	s_cbranch_execz .LBB15_137
; %bb.136:
	s_wait_dscnt 0x0
	v_add_f64_e32 v[3:4], v[3:4], v[1:2]
.LBB15_137:
	s_or_b32 exec_lo, exec_lo, s1
	v_cmp_gt_u32_e32 vcc_lo, 30, v131
	v_add_nc_u32_e32 v6, 2, v131
	s_mov_b32 s1, exec_lo
	s_wait_dscnt 0x1
	s_wait_alu 0xfffd
	v_cndmask_b32_e64 v1, 0, 1, vcc_lo
	s_delay_alu instid0(VALU_DEP_1) | instskip(SKIP_1) | instid1(VALU_DEP_1)
	v_lshlrev_b32_e32 v1, 1, v1
	s_wait_dscnt 0x0
	v_add_lshl_u32 v2, v1, v131, 2
	ds_bpermute_b32 v1, v2, v3
	ds_bpermute_b32 v2, v2, v4
	v_cmpx_lt_u32_e64 v6, v5
	s_cbranch_execz .LBB15_139
; %bb.138:
	s_wait_dscnt 0x0
	v_add_f64_e32 v[3:4], v[3:4], v[1:2]
.LBB15_139:
	s_wait_alu 0xfffe
	s_or_b32 exec_lo, exec_lo, s1
	v_cmp_gt_u32_e32 vcc_lo, 28, v131
	v_add_nc_u32_e32 v6, 4, v131
	s_mov_b32 s1, exec_lo
	s_wait_dscnt 0x1
	s_wait_alu 0xfffd
	v_cndmask_b32_e64 v1, 0, 1, vcc_lo
	s_delay_alu instid0(VALU_DEP_1) | instskip(SKIP_1) | instid1(VALU_DEP_1)
	v_lshlrev_b32_e32 v1, 2, v1
	s_wait_dscnt 0x0
	v_add_lshl_u32 v2, v1, v131, 2
	ds_bpermute_b32 v1, v2, v3
	ds_bpermute_b32 v2, v2, v4
	v_cmpx_lt_u32_e64 v6, v5
	s_cbranch_execz .LBB15_141
; %bb.140:
	s_wait_dscnt 0x0
	v_add_f64_e32 v[3:4], v[3:4], v[1:2]
.LBB15_141:
	s_wait_alu 0xfffe
	s_or_b32 exec_lo, exec_lo, s1
	v_cmp_gt_u32_e32 vcc_lo, 24, v131
	v_add_nc_u32_e32 v6, 8, v131
	s_mov_b32 s1, exec_lo
	s_wait_dscnt 0x1
	s_wait_alu 0xfffd
	v_cndmask_b32_e64 v1, 0, 1, vcc_lo
	s_delay_alu instid0(VALU_DEP_1) | instskip(SKIP_1) | instid1(VALU_DEP_1)
	v_lshlrev_b32_e32 v1, 3, v1
	s_wait_dscnt 0x0
	v_add_lshl_u32 v2, v1, v131, 2
	ds_bpermute_b32 v1, v2, v3
	ds_bpermute_b32 v2, v2, v4
	v_cmpx_lt_u32_e64 v6, v5
	s_cbranch_execz .LBB15_143
; %bb.142:
	s_wait_dscnt 0x0
	v_add_f64_e32 v[3:4], v[3:4], v[1:2]
.LBB15_143:
	s_wait_alu 0xfffe
	s_or_b32 exec_lo, exec_lo, s1
	v_cmp_gt_u32_e32 vcc_lo, 16, v131
	v_add_nc_u32_e32 v6, 16, v131
	s_mov_b32 s1, exec_lo
	s_wait_dscnt 0x1
	s_wait_alu 0xfffd
	v_cndmask_b32_e64 v1, 0, 1, vcc_lo
	s_delay_alu instid0(VALU_DEP_1) | instskip(SKIP_1) | instid1(VALU_DEP_1)
	v_lshlrev_b32_e32 v1, 4, v1
	s_wait_dscnt 0x0
	v_add_lshl_u32 v2, v1, v131, 2
	ds_bpermute_b32 v1, v2, v3
	ds_bpermute_b32 v2, v2, v4
	v_cmpx_lt_u32_e64 v6, v5
	s_cbranch_execz .LBB15_145
; %bb.144:
	s_wait_dscnt 0x0
	v_add_f64_e32 v[3:4], v[3:4], v[1:2]
.LBB15_145:
	s_wait_alu 0xfffe
	s_or_b32 exec_lo, exec_lo, s1
	s_delay_alu instid0(SALU_CYCLE_1)
	s_mov_b32 s1, exec_lo
	v_cmpx_eq_u32_e32 0, v131
	s_cbranch_execz .LBB15_147
; %bb.146:
	s_wait_dscnt 0x1
	v_lshrrev_b32_e32 v1, 2, v0
	s_delay_alu instid0(VALU_DEP_1)
	v_and_b32_e32 v1, 56, v1
	ds_store_b64 v1, v[3:4] offset:64
.LBB15_147:
	s_wait_alu 0xfffe
	s_or_b32 exec_lo, exec_lo, s1
	s_delay_alu instid0(SALU_CYCLE_1)
	s_mov_b32 s1, exec_lo
	global_wb scope:SCOPE_SE
	s_wait_dscnt 0x0
	s_barrier_signal -1
	s_barrier_wait -1
	global_inv scope:SCOPE_SE
	v_cmpx_gt_u32_e32 8, v0
	s_cbranch_execz .LBB15_155
; %bb.148:
	v_lshlrev_b32_e32 v1, 3, v131
	v_and_b32_e32 v5, 7, v131
	s_add_co_i32 s0, s0, 31
	s_mov_b32 s2, exec_lo
	s_wait_alu 0xfffe
	s_lshr_b32 s0, s0, 5
	ds_load_b64 v[3:4], v1 offset:64
	v_cmp_ne_u32_e32 vcc_lo, 7, v5
	v_add_nc_u32_e32 v6, 1, v5
	s_wait_alu 0xfffd
	v_add_co_ci_u32_e32 v1, vcc_lo, 0, v131, vcc_lo
	s_delay_alu instid0(VALU_DEP_1)
	v_lshlrev_b32_e32 v2, 2, v1
	s_wait_dscnt 0x0
	ds_bpermute_b32 v1, v2, v3
	ds_bpermute_b32 v2, v2, v4
	s_wait_alu 0xfffe
	v_cmpx_gt_u32_e64 s0, v6
	s_cbranch_execz .LBB15_150
; %bb.149:
	s_wait_dscnt 0x0
	v_add_f64_e32 v[3:4], v[3:4], v[1:2]
.LBB15_150:
	s_or_b32 exec_lo, exec_lo, s2
	v_cmp_gt_u32_e32 vcc_lo, 6, v5
	v_add_nc_u32_e32 v6, 2, v5
	s_mov_b32 s2, exec_lo
	s_wait_dscnt 0x1
	s_wait_alu 0xfffd
	v_cndmask_b32_e64 v1, 0, 1, vcc_lo
	s_delay_alu instid0(VALU_DEP_1) | instskip(SKIP_1) | instid1(VALU_DEP_1)
	v_lshlrev_b32_e32 v1, 1, v1
	s_wait_dscnt 0x0
	v_add_lshl_u32 v2, v1, v131, 2
	ds_bpermute_b32 v1, v2, v3
	ds_bpermute_b32 v2, v2, v4
	v_cmpx_gt_u32_e64 s0, v6
	s_cbranch_execz .LBB15_152
; %bb.151:
	s_wait_dscnt 0x0
	v_add_f64_e32 v[3:4], v[3:4], v[1:2]
.LBB15_152:
	s_wait_alu 0xfffe
	s_or_b32 exec_lo, exec_lo, s2
	v_cmp_gt_u32_e32 vcc_lo, 4, v5
	v_add_nc_u32_e32 v5, 4, v5
	s_wait_dscnt 0x1
	s_wait_alu 0xfffd
	v_cndmask_b32_e64 v1, 0, 1, vcc_lo
	s_delay_alu instid0(VALU_DEP_2) | instskip(NEXT) | instid1(VALU_DEP_2)
	v_cmp_gt_u32_e32 vcc_lo, s0, v5
	v_lshlrev_b32_e32 v1, 2, v1
	s_wait_dscnt 0x0
	s_delay_alu instid0(VALU_DEP_1)
	v_add_lshl_u32 v2, v1, v131, 2
	ds_bpermute_b32 v1, v2, v3
	ds_bpermute_b32 v2, v2, v4
	s_and_saveexec_b32 s0, vcc_lo
	s_cbranch_execz .LBB15_154
; %bb.153:
	s_wait_dscnt 0x0
	v_add_f64_e32 v[3:4], v[3:4], v[1:2]
.LBB15_154:
	s_wait_alu 0xfffe
	s_or_b32 exec_lo, exec_lo, s0
.LBB15_155:
	s_wait_alu 0xfffe
	s_or_b32 exec_lo, exec_lo, s1
.LBB15_156:
	s_delay_alu instid0(SALU_CYCLE_1)
	s_mov_b32 s0, exec_lo
	v_cmpx_eq_u32_e32 0, v0
	s_cbranch_execz .LBB15_158
; %bb.157:
	s_wait_dscnt 0x1
	s_delay_alu instid0(VALU_DEP_2)
	v_add_f64_e32 v[0:1], s[68:69], v[3:4]
	s_lshl_b64 s[0:1], s[70:71], 3
	s_cmp_eq_u64 s[64:65], 0
	s_wait_dscnt 0x0
	v_mov_b32_e32 v2, 0
	s_cselect_b32 s2, -1, 0
	s_wait_alu 0xfffe
	s_add_nc_u64 s[0:1], s[66:67], s[0:1]
	s_delay_alu instid0(VALU_DEP_2) | instskip(NEXT) | instid1(VALU_DEP_3)
	v_cndmask_b32_e64 v1, v1, s69, s2
	v_cndmask_b32_e64 v0, v0, s68, s2
	global_store_b64 v2, v[0:1], s[0:1]
.LBB15_158:
	s_nop 0
	s_sendmsg sendmsg(MSG_DEALLOC_VGPRS)
	s_endpgm
	.section	.rodata,"a",@progbits
	.p2align	6, 0x0
	.amdhsa_kernel _ZN7rocprim6detail19block_reduce_kernelILb1ELb1ELj4ENS0_21wrapped_reduce_configINS_14default_configEdEEdN6thrust11hip_rocprim26transform_input_iterator_tIdNS5_6detail15normal_iteratorINS5_10device_ptrIdEEEEZ4mainEUldE_EEPddNS5_4plusIdEEEEvT4_mT5_T6_T7_
		.amdhsa_group_segment_fixed_size 128
		.amdhsa_private_segment_fixed_size 0
		.amdhsa_kernarg_size 44
		.amdhsa_user_sgpr_count 2
		.amdhsa_user_sgpr_dispatch_ptr 0
		.amdhsa_user_sgpr_queue_ptr 0
		.amdhsa_user_sgpr_kernarg_segment_ptr 1
		.amdhsa_user_sgpr_dispatch_id 0
		.amdhsa_user_sgpr_private_segment_size 0
		.amdhsa_wavefront_size32 1
		.amdhsa_uses_dynamic_stack 0
		.amdhsa_enable_private_segment 0
		.amdhsa_system_sgpr_workgroup_id_x 1
		.amdhsa_system_sgpr_workgroup_id_y 0
		.amdhsa_system_sgpr_workgroup_id_z 0
		.amdhsa_system_sgpr_workgroup_info 0
		.amdhsa_system_vgpr_workitem_id 0
		.amdhsa_next_free_vgpr 132
		.amdhsa_next_free_sgpr 73
		.amdhsa_reserve_vcc 1
		.amdhsa_float_round_mode_32 0
		.amdhsa_float_round_mode_16_64 0
		.amdhsa_float_denorm_mode_32 3
		.amdhsa_float_denorm_mode_16_64 3
		.amdhsa_fp16_overflow 0
		.amdhsa_workgroup_processor_mode 1
		.amdhsa_memory_ordered 1
		.amdhsa_forward_progress 0
		.amdhsa_round_robin_scheduling 0
		.amdhsa_exception_fp_ieee_invalid_op 0
		.amdhsa_exception_fp_denorm_src 0
		.amdhsa_exception_fp_ieee_div_zero 0
		.amdhsa_exception_fp_ieee_overflow 0
		.amdhsa_exception_fp_ieee_underflow 0
		.amdhsa_exception_fp_ieee_inexact 0
		.amdhsa_exception_int_div_zero 0
	.end_amdhsa_kernel
	.section	.text._ZN7rocprim6detail19block_reduce_kernelILb1ELb1ELj4ENS0_21wrapped_reduce_configINS_14default_configEdEEdN6thrust11hip_rocprim26transform_input_iterator_tIdNS5_6detail15normal_iteratorINS5_10device_ptrIdEEEEZ4mainEUldE_EEPddNS5_4plusIdEEEEvT4_mT5_T6_T7_,"axG",@progbits,_ZN7rocprim6detail19block_reduce_kernelILb1ELb1ELj4ENS0_21wrapped_reduce_configINS_14default_configEdEEdN6thrust11hip_rocprim26transform_input_iterator_tIdNS5_6detail15normal_iteratorINS5_10device_ptrIdEEEEZ4mainEUldE_EEPddNS5_4plusIdEEEEvT4_mT5_T6_T7_,comdat
.Lfunc_end15:
	.size	_ZN7rocprim6detail19block_reduce_kernelILb1ELb1ELj4ENS0_21wrapped_reduce_configINS_14default_configEdEEdN6thrust11hip_rocprim26transform_input_iterator_tIdNS5_6detail15normal_iteratorINS5_10device_ptrIdEEEEZ4mainEUldE_EEPddNS5_4plusIdEEEEvT4_mT5_T6_T7_, .Lfunc_end15-_ZN7rocprim6detail19block_reduce_kernelILb1ELb1ELj4ENS0_21wrapped_reduce_configINS_14default_configEdEEdN6thrust11hip_rocprim26transform_input_iterator_tIdNS5_6detail15normal_iteratorINS5_10device_ptrIdEEEEZ4mainEUldE_EEPddNS5_4plusIdEEEEvT4_mT5_T6_T7_
                                        ; -- End function
	.section	.AMDGPU.csdata,"",@progbits
; Kernel info:
; codeLenInByte = 8260
; NumSgprs: 75
; NumVgprs: 132
; ScratchSize: 0
; MemoryBound: 1
; FloatMode: 240
; IeeeMode: 1
; LDSByteSize: 128 bytes/workgroup (compile time only)
; SGPRBlocks: 9
; VGPRBlocks: 16
; NumSGPRsForWavesPerEU: 75
; NumVGPRsForWavesPerEU: 132
; Occupancy: 10
; WaveLimiterHint : 1
; COMPUTE_PGM_RSRC2:SCRATCH_EN: 0
; COMPUTE_PGM_RSRC2:USER_SGPR: 2
; COMPUTE_PGM_RSRC2:TRAP_HANDLER: 0
; COMPUTE_PGM_RSRC2:TGID_X_EN: 1
; COMPUTE_PGM_RSRC2:TGID_Y_EN: 0
; COMPUTE_PGM_RSRC2:TGID_Z_EN: 0
; COMPUTE_PGM_RSRC2:TIDIG_COMP_CNT: 0
	.section	.text._ZN7rocprim6detail19block_reduce_kernelILb1ELb1ELj8ENS0_21wrapped_reduce_configINS_14default_configEdEEdN6thrust11hip_rocprim26transform_input_iterator_tIdNS5_6detail15normal_iteratorINS5_10device_ptrIdEEEEZ4mainEUldE_EEPddNS5_4plusIdEEEEvT4_mT5_T6_T7_,"axG",@progbits,_ZN7rocprim6detail19block_reduce_kernelILb1ELb1ELj8ENS0_21wrapped_reduce_configINS_14default_configEdEEdN6thrust11hip_rocprim26transform_input_iterator_tIdNS5_6detail15normal_iteratorINS5_10device_ptrIdEEEEZ4mainEUldE_EEPddNS5_4plusIdEEEEvT4_mT5_T6_T7_,comdat
	.globl	_ZN7rocprim6detail19block_reduce_kernelILb1ELb1ELj8ENS0_21wrapped_reduce_configINS_14default_configEdEEdN6thrust11hip_rocprim26transform_input_iterator_tIdNS5_6detail15normal_iteratorINS5_10device_ptrIdEEEEZ4mainEUldE_EEPddNS5_4plusIdEEEEvT4_mT5_T6_T7_ ; -- Begin function _ZN7rocprim6detail19block_reduce_kernelILb1ELb1ELj8ENS0_21wrapped_reduce_configINS_14default_configEdEEdN6thrust11hip_rocprim26transform_input_iterator_tIdNS5_6detail15normal_iteratorINS5_10device_ptrIdEEEEZ4mainEUldE_EEPddNS5_4plusIdEEEEvT4_mT5_T6_T7_
	.p2align	8
	.type	_ZN7rocprim6detail19block_reduce_kernelILb1ELb1ELj8ENS0_21wrapped_reduce_configINS_14default_configEdEEdN6thrust11hip_rocprim26transform_input_iterator_tIdNS5_6detail15normal_iteratorINS5_10device_ptrIdEEEEZ4mainEUldE_EEPddNS5_4plusIdEEEEvT4_mT5_T6_T7_,@function
_ZN7rocprim6detail19block_reduce_kernelILb1ELb1ELj8ENS0_21wrapped_reduce_configINS_14default_configEdEEdN6thrust11hip_rocprim26transform_input_iterator_tIdNS5_6detail15normal_iteratorINS5_10device_ptrIdEEEEZ4mainEUldE_EEPddNS5_4plusIdEEEEvT4_mT5_T6_T7_: ; @_ZN7rocprim6detail19block_reduce_kernelILb1ELb1ELj8ENS0_21wrapped_reduce_configINS_14default_configEdEEdN6thrust11hip_rocprim26transform_input_iterator_tIdNS5_6detail15normal_iteratorINS5_10device_ptrIdEEEEZ4mainEUldE_EEPddNS5_4plusIdEEEEvT4_mT5_T6_T7_
; %bb.0:
	s_clause 0x2
	s_load_b128 s[8:11], s[0:1], 0x10
	s_load_b64 s[2:3], s[0:1], 0x0
	s_load_b64 s[0:1], s[0:1], 0x20
                                        ; implicit-def: $vgpr255 : SGPR spill to VGPR lane
	v_lshlrev_b32_e32 v1, 3, v0
	v_mbcnt_lo_u32_b32 v9, -1, 0
	s_mov_b32 s20, ttmp9
	s_wait_kmcnt 0x0
	v_writelane_b32 v255, s0, 0
	v_writelane_b32 v255, s1, 1
	s_mov_b32 s1, 0
	s_lshl_b32 s0, ttmp9, 15
	s_wait_alu 0xfffe
	s_mov_b32 s21, s1
	s_lshl_b64 s[4:5], s[0:1], 3
	v_writelane_b32 v255, s8, 2
	s_add_nc_u64 s[2:3], s[2:3], s[4:5]
	s_lshr_b64 s[6:7], s[8:9], 15
	v_add_co_u32 v1, s1, s2, v1
	v_writelane_b32 v255, s9, 3
	s_wait_alu 0xf1ff
	v_add_co_ci_u32_e64 v2, null, s3, 0, s1
	s_cmp_lg_u64 s[6:7], s[20:21]
	v_writelane_b32 v255, s10, 4
	v_writelane_b32 v255, s11, 5
	s_cbranch_scc0 .LBB16_6
; %bb.1:
	s_clause 0x9
	global_load_b64 v[3:4], v[1:2], off
	global_load_b64 v[5:6], v[1:2], off offset:2048
	global_load_b64 v[7:8], v[1:2], off offset:4096
	;; [unrolled: 1-line block ×9, first 2 shown]
	s_mov_b32 s1, exec_lo
	s_wait_loadcnt 0x8
	v_add_f64_e64 v[3:4], |v[3:4]|, |v[5:6]|
	global_load_b64 v[5:6], v[1:2], off offset:20480
	s_wait_loadcnt 0x8
	v_add_f64_e64 v[3:4], v[3:4], |v[7:8]|
	global_load_b64 v[7:8], v[1:2], off offset:22528
	s_wait_loadcnt 0x8
	v_add_f64_e64 v[3:4], v[3:4], |v[10:11]|
	global_load_b64 v[10:11], v[1:2], off offset:24576
	s_wait_loadcnt 0x8
	v_add_f64_e64 v[3:4], v[3:4], |v[12:13]|
	global_load_b64 v[12:13], v[1:2], off offset:26624
	s_wait_loadcnt 0x8
	v_add_f64_e64 v[3:4], v[3:4], |v[14:15]|
	global_load_b64 v[14:15], v[1:2], off offset:28672
	s_wait_loadcnt 0x8
	v_add_f64_e64 v[3:4], v[3:4], |v[16:17]|
	global_load_b64 v[16:17], v[1:2], off offset:30720
	s_wait_loadcnt 0x8
	v_add_f64_e64 v[3:4], v[3:4], |v[18:19]|
	global_load_b64 v[18:19], v[1:2], off offset:32768
	s_wait_loadcnt 0x8
	v_add_f64_e64 v[3:4], v[3:4], |v[20:21]|
	global_load_b64 v[20:21], v[1:2], off offset:34816
	s_wait_loadcnt 0x8
	v_add_f64_e64 v[3:4], v[3:4], |v[22:23]|
	global_load_b64 v[22:23], v[1:2], off offset:36864
	s_wait_loadcnt 0x8
	v_add_f64_e64 v[3:4], v[3:4], |v[5:6]|
	global_load_b64 v[5:6], v[1:2], off offset:38912
	s_wait_loadcnt 0x8
	v_add_f64_e64 v[3:4], v[3:4], |v[7:8]|
	global_load_b64 v[7:8], v[1:2], off offset:40960
	s_wait_loadcnt 0x8
	v_add_f64_e64 v[3:4], v[3:4], |v[10:11]|
	global_load_b64 v[10:11], v[1:2], off offset:43008
	s_wait_loadcnt 0x8
	v_add_f64_e64 v[3:4], v[3:4], |v[12:13]|
	global_load_b64 v[12:13], v[1:2], off offset:45056
	s_wait_loadcnt 0x8
	v_add_f64_e64 v[3:4], v[3:4], |v[14:15]|
	global_load_b64 v[14:15], v[1:2], off offset:47104
	s_wait_loadcnt 0x8
	v_add_f64_e64 v[3:4], v[3:4], |v[16:17]|
	global_load_b64 v[16:17], v[1:2], off offset:49152
	s_wait_loadcnt 0x8
	v_add_f64_e64 v[3:4], v[3:4], |v[18:19]|
	global_load_b64 v[18:19], v[1:2], off offset:51200
	s_wait_loadcnt 0x8
	v_add_f64_e64 v[3:4], v[3:4], |v[20:21]|
	global_load_b64 v[20:21], v[1:2], off offset:53248
	s_wait_loadcnt 0x8
	v_add_f64_e64 v[3:4], v[3:4], |v[22:23]|
	global_load_b64 v[22:23], v[1:2], off offset:55296
	s_wait_loadcnt 0x8
	v_add_f64_e64 v[3:4], v[3:4], |v[5:6]|
	global_load_b64 v[5:6], v[1:2], off offset:57344
	s_wait_loadcnt 0x8
	v_add_f64_e64 v[3:4], v[3:4], |v[7:8]|
	global_load_b64 v[7:8], v[1:2], off offset:59392
	s_wait_loadcnt 0x8
	v_add_f64_e64 v[3:4], v[3:4], |v[10:11]|
	global_load_b64 v[10:11], v[1:2], off offset:61440
	s_wait_loadcnt 0x8
	v_add_f64_e64 v[3:4], v[3:4], |v[12:13]|
	global_load_b64 v[12:13], v[1:2], off offset:63488
	s_wait_loadcnt 0x8
	v_add_f64_e64 v[3:4], v[3:4], |v[14:15]|
	global_load_b64 v[14:15], v[1:2], off offset:65536
	s_wait_loadcnt 0x8
	v_add_f64_e64 v[3:4], v[3:4], |v[16:17]|
	global_load_b64 v[16:17], v[1:2], off offset:67584
	s_wait_loadcnt 0x8
	v_add_f64_e64 v[3:4], v[3:4], |v[18:19]|
	global_load_b64 v[18:19], v[1:2], off offset:69632
	s_wait_loadcnt 0x8
	v_add_f64_e64 v[3:4], v[3:4], |v[20:21]|
	global_load_b64 v[20:21], v[1:2], off offset:71680
	s_wait_loadcnt 0x8
	v_add_f64_e64 v[3:4], v[3:4], |v[22:23]|
	global_load_b64 v[22:23], v[1:2], off offset:73728
	s_wait_loadcnt 0x8
	v_add_f64_e64 v[3:4], |v[5:6]|, v[3:4]
	global_load_b64 v[5:6], v[1:2], off offset:75776
	s_wait_loadcnt 0x8
	v_add_f64_e64 v[3:4], |v[7:8]|, v[3:4]
	global_load_b64 v[7:8], v[1:2], off offset:77824
	s_wait_loadcnt 0x8
	v_add_f64_e64 v[3:4], |v[10:11]|, v[3:4]
	global_load_b64 v[10:11], v[1:2], off offset:79872
	s_wait_loadcnt 0x8
	v_add_f64_e64 v[3:4], |v[12:13]|, v[3:4]
	global_load_b64 v[12:13], v[1:2], off offset:81920
	s_wait_loadcnt 0x8
	v_add_f64_e64 v[3:4], |v[14:15]|, v[3:4]
	global_load_b64 v[14:15], v[1:2], off offset:83968
	s_wait_loadcnt 0x8
	v_add_f64_e64 v[3:4], |v[16:17]|, v[3:4]
	global_load_b64 v[16:17], v[1:2], off offset:86016
	s_wait_loadcnt 0x8
	v_add_f64_e64 v[3:4], |v[18:19]|, v[3:4]
	global_load_b64 v[18:19], v[1:2], off offset:88064
	s_wait_loadcnt 0x8
	v_add_f64_e64 v[3:4], |v[20:21]|, v[3:4]
	global_load_b64 v[20:21], v[1:2], off offset:90112
	s_wait_loadcnt 0x8
	v_add_f64_e64 v[3:4], |v[22:23]|, v[3:4]
	global_load_b64 v[22:23], v[1:2], off offset:92160
	s_wait_loadcnt 0x8
	v_add_f64_e64 v[3:4], |v[5:6]|, v[3:4]
	global_load_b64 v[5:6], v[1:2], off offset:94208
	s_wait_loadcnt 0x8
	v_add_f64_e64 v[3:4], |v[7:8]|, v[3:4]
	global_load_b64 v[7:8], v[1:2], off offset:96256
	s_wait_loadcnt 0x8
	v_add_f64_e64 v[3:4], |v[10:11]|, v[3:4]
	global_load_b64 v[10:11], v[1:2], off offset:98304
	s_wait_loadcnt 0x8
	v_add_f64_e64 v[3:4], |v[12:13]|, v[3:4]
	global_load_b64 v[12:13], v[1:2], off offset:100352
	s_wait_loadcnt 0x8
	v_add_f64_e64 v[3:4], |v[14:15]|, v[3:4]
	global_load_b64 v[14:15], v[1:2], off offset:102400
	s_wait_loadcnt 0x8
	v_add_f64_e64 v[3:4], |v[16:17]|, v[3:4]
	global_load_b64 v[16:17], v[1:2], off offset:104448
	s_wait_loadcnt 0x8
	v_add_f64_e64 v[3:4], |v[18:19]|, v[3:4]
	global_load_b64 v[18:19], v[1:2], off offset:106496
	s_wait_loadcnt 0x8
	v_add_f64_e64 v[3:4], |v[20:21]|, v[3:4]
	global_load_b64 v[20:21], v[1:2], off offset:108544
	s_wait_loadcnt 0x8
	v_add_f64_e64 v[3:4], |v[22:23]|, v[3:4]
	global_load_b64 v[22:23], v[1:2], off offset:110592
	s_wait_loadcnt 0x8
	v_add_f64_e64 v[3:4], |v[5:6]|, v[3:4]
	global_load_b64 v[5:6], v[1:2], off offset:112640
	s_wait_loadcnt 0x8
	v_add_f64_e64 v[3:4], |v[7:8]|, v[3:4]
	global_load_b64 v[7:8], v[1:2], off offset:114688
	s_wait_loadcnt 0x8
	v_add_f64_e64 v[3:4], |v[10:11]|, v[3:4]
	global_load_b64 v[10:11], v[1:2], off offset:116736
	s_wait_loadcnt 0x8
	v_add_f64_e64 v[3:4], |v[12:13]|, v[3:4]
	global_load_b64 v[12:13], v[1:2], off offset:118784
	s_wait_loadcnt 0x8
	v_add_f64_e64 v[3:4], |v[14:15]|, v[3:4]
	global_load_b64 v[14:15], v[1:2], off offset:120832
	s_wait_loadcnt 0x8
	v_add_f64_e64 v[3:4], |v[16:17]|, v[3:4]
	global_load_b64 v[16:17], v[1:2], off offset:122880
	s_wait_loadcnt 0x8
	v_add_f64_e64 v[3:4], |v[18:19]|, v[3:4]
	global_load_b64 v[18:19], v[1:2], off offset:124928
	s_wait_loadcnt 0x8
	v_add_f64_e64 v[3:4], |v[20:21]|, v[3:4]
	global_load_b64 v[20:21], v[1:2], off offset:126976
	s_wait_loadcnt 0x8
	v_add_f64_e64 v[3:4], |v[22:23]|, v[3:4]
	global_load_b64 v[22:23], v[1:2], off offset:129024
	s_wait_loadcnt 0x8
	v_add_f64_e64 v[3:4], |v[5:6]|, v[3:4]
	global_load_b64 v[5:6], v[1:2], off offset:131072
	s_wait_loadcnt 0x8
	v_add_f64_e64 v[3:4], |v[7:8]|, v[3:4]
	global_load_b64 v[7:8], v[1:2], off offset:133120
	s_wait_loadcnt 0x8
	v_add_f64_e64 v[3:4], |v[10:11]|, v[3:4]
	global_load_b64 v[10:11], v[1:2], off offset:135168
	s_wait_loadcnt 0x8
	v_add_f64_e64 v[3:4], |v[12:13]|, v[3:4]
	global_load_b64 v[12:13], v[1:2], off offset:137216
	s_wait_loadcnt 0x8
	v_add_f64_e64 v[3:4], |v[14:15]|, v[3:4]
	global_load_b64 v[14:15], v[1:2], off offset:139264
	s_wait_loadcnt 0x8
	v_add_f64_e64 v[3:4], |v[16:17]|, v[3:4]
	global_load_b64 v[16:17], v[1:2], off offset:141312
	s_wait_loadcnt 0x8
	v_add_f64_e64 v[3:4], |v[18:19]|, v[3:4]
	global_load_b64 v[18:19], v[1:2], off offset:143360
	s_wait_loadcnt 0x8
	v_add_f64_e64 v[3:4], |v[20:21]|, v[3:4]
	global_load_b64 v[20:21], v[1:2], off offset:145408
	s_wait_loadcnt 0x8
	v_add_f64_e64 v[3:4], |v[22:23]|, v[3:4]
	global_load_b64 v[22:23], v[1:2], off offset:147456
	s_wait_loadcnt 0x8
	v_add_f64_e64 v[3:4], |v[5:6]|, v[3:4]
	global_load_b64 v[5:6], v[1:2], off offset:149504
	s_wait_loadcnt 0x8
	v_add_f64_e64 v[3:4], |v[7:8]|, v[3:4]
	global_load_b64 v[7:8], v[1:2], off offset:151552
	s_wait_loadcnt 0x8
	v_add_f64_e64 v[3:4], |v[10:11]|, v[3:4]
	global_load_b64 v[10:11], v[1:2], off offset:153600
	s_wait_loadcnt 0x8
	v_add_f64_e64 v[3:4], |v[12:13]|, v[3:4]
	global_load_b64 v[12:13], v[1:2], off offset:155648
	s_wait_loadcnt 0x8
	v_add_f64_e64 v[3:4], |v[14:15]|, v[3:4]
	global_load_b64 v[14:15], v[1:2], off offset:157696
	s_wait_loadcnt 0x8
	v_add_f64_e64 v[3:4], |v[16:17]|, v[3:4]
	global_load_b64 v[16:17], v[1:2], off offset:159744
	s_wait_loadcnt 0x8
	v_add_f64_e64 v[3:4], |v[18:19]|, v[3:4]
	global_load_b64 v[18:19], v[1:2], off offset:161792
	s_wait_loadcnt 0x8
	v_add_f64_e64 v[3:4], |v[20:21]|, v[3:4]
	global_load_b64 v[20:21], v[1:2], off offset:163840
	s_wait_loadcnt 0x8
	v_add_f64_e64 v[3:4], |v[22:23]|, v[3:4]
	global_load_b64 v[22:23], v[1:2], off offset:165888
	s_wait_loadcnt 0x8
	v_add_f64_e64 v[3:4], |v[5:6]|, v[3:4]
	global_load_b64 v[5:6], v[1:2], off offset:167936
	s_wait_loadcnt 0x8
	v_add_f64_e64 v[3:4], |v[7:8]|, v[3:4]
	global_load_b64 v[7:8], v[1:2], off offset:169984
	s_wait_loadcnt 0x8
	v_add_f64_e64 v[3:4], |v[10:11]|, v[3:4]
	global_load_b64 v[10:11], v[1:2], off offset:172032
	s_wait_loadcnt 0x8
	v_add_f64_e64 v[3:4], |v[12:13]|, v[3:4]
	global_load_b64 v[12:13], v[1:2], off offset:174080
	s_wait_loadcnt 0x8
	v_add_f64_e64 v[3:4], |v[14:15]|, v[3:4]
	global_load_b64 v[14:15], v[1:2], off offset:176128
	s_wait_loadcnt 0x8
	v_add_f64_e64 v[3:4], |v[16:17]|, v[3:4]
	global_load_b64 v[16:17], v[1:2], off offset:178176
	s_wait_loadcnt 0x8
	v_add_f64_e64 v[3:4], |v[18:19]|, v[3:4]
	global_load_b64 v[18:19], v[1:2], off offset:180224
	s_wait_loadcnt 0x8
	v_add_f64_e64 v[3:4], |v[20:21]|, v[3:4]
	global_load_b64 v[20:21], v[1:2], off offset:182272
	s_wait_loadcnt 0x8
	v_add_f64_e64 v[3:4], |v[22:23]|, v[3:4]
	global_load_b64 v[22:23], v[1:2], off offset:184320
	s_wait_loadcnt 0x8
	v_add_f64_e64 v[3:4], |v[5:6]|, v[3:4]
	global_load_b64 v[5:6], v[1:2], off offset:186368
	s_wait_loadcnt 0x8
	v_add_f64_e64 v[3:4], |v[7:8]|, v[3:4]
	global_load_b64 v[7:8], v[1:2], off offset:188416
	s_wait_loadcnt 0x8
	v_add_f64_e64 v[3:4], |v[10:11]|, v[3:4]
	global_load_b64 v[10:11], v[1:2], off offset:190464
	s_wait_loadcnt 0x8
	v_add_f64_e64 v[3:4], |v[12:13]|, v[3:4]
	global_load_b64 v[12:13], v[1:2], off offset:192512
	s_wait_loadcnt 0x8
	v_add_f64_e64 v[3:4], |v[14:15]|, v[3:4]
	global_load_b64 v[14:15], v[1:2], off offset:194560
	s_wait_loadcnt 0x8
	v_add_f64_e64 v[3:4], |v[16:17]|, v[3:4]
	global_load_b64 v[16:17], v[1:2], off offset:196608
	s_wait_loadcnt 0x8
	v_add_f64_e64 v[3:4], |v[18:19]|, v[3:4]
	global_load_b64 v[18:19], v[1:2], off offset:198656
	s_wait_loadcnt 0x8
	v_add_f64_e64 v[3:4], |v[20:21]|, v[3:4]
	global_load_b64 v[20:21], v[1:2], off offset:200704
	s_wait_loadcnt 0x8
	v_add_f64_e64 v[3:4], |v[22:23]|, v[3:4]
	global_load_b64 v[22:23], v[1:2], off offset:202752
	s_wait_loadcnt 0x8
	v_add_f64_e64 v[3:4], |v[5:6]|, v[3:4]
	global_load_b64 v[5:6], v[1:2], off offset:204800
	s_wait_loadcnt 0x8
	v_add_f64_e64 v[3:4], |v[7:8]|, v[3:4]
	global_load_b64 v[7:8], v[1:2], off offset:206848
	s_wait_loadcnt 0x8
	v_add_f64_e64 v[3:4], |v[10:11]|, v[3:4]
	global_load_b64 v[10:11], v[1:2], off offset:208896
	s_wait_loadcnt 0x8
	v_add_f64_e64 v[3:4], |v[12:13]|, v[3:4]
	global_load_b64 v[12:13], v[1:2], off offset:210944
	s_wait_loadcnt 0x8
	v_add_f64_e64 v[3:4], |v[14:15]|, v[3:4]
	global_load_b64 v[14:15], v[1:2], off offset:212992
	s_wait_loadcnt 0x8
	v_add_f64_e64 v[3:4], |v[16:17]|, v[3:4]
	global_load_b64 v[16:17], v[1:2], off offset:215040
	s_wait_loadcnt 0x8
	v_add_f64_e64 v[3:4], |v[18:19]|, v[3:4]
	global_load_b64 v[18:19], v[1:2], off offset:217088
	s_wait_loadcnt 0x8
	v_add_f64_e64 v[3:4], |v[20:21]|, v[3:4]
	global_load_b64 v[20:21], v[1:2], off offset:219136
	s_wait_loadcnt 0x8
	v_add_f64_e64 v[3:4], |v[22:23]|, v[3:4]
	global_load_b64 v[22:23], v[1:2], off offset:221184
	s_wait_loadcnt 0x8
	v_add_f64_e64 v[3:4], |v[5:6]|, v[3:4]
	global_load_b64 v[5:6], v[1:2], off offset:223232
	s_wait_loadcnt 0x8
	v_add_f64_e64 v[3:4], |v[7:8]|, v[3:4]
	global_load_b64 v[7:8], v[1:2], off offset:225280
	s_wait_loadcnt 0x8
	v_add_f64_e64 v[3:4], |v[10:11]|, v[3:4]
	global_load_b64 v[10:11], v[1:2], off offset:227328
	s_wait_loadcnt 0x8
	v_add_f64_e64 v[3:4], |v[12:13]|, v[3:4]
	global_load_b64 v[12:13], v[1:2], off offset:229376
	s_wait_loadcnt 0x8
	v_add_f64_e64 v[3:4], |v[14:15]|, v[3:4]
	global_load_b64 v[14:15], v[1:2], off offset:231424
	s_wait_loadcnt 0x8
	v_add_f64_e64 v[3:4], |v[16:17]|, v[3:4]
	global_load_b64 v[16:17], v[1:2], off offset:233472
	s_wait_loadcnt 0x8
	v_add_f64_e64 v[3:4], |v[18:19]|, v[3:4]
	global_load_b64 v[18:19], v[1:2], off offset:235520
	s_wait_loadcnt 0x8
	v_add_f64_e64 v[3:4], |v[20:21]|, v[3:4]
	global_load_b64 v[20:21], v[1:2], off offset:237568
	s_wait_loadcnt 0x8
	v_add_f64_e64 v[3:4], |v[22:23]|, v[3:4]
	global_load_b64 v[22:23], v[1:2], off offset:239616
	s_wait_loadcnt 0x8
	v_add_f64_e64 v[3:4], |v[5:6]|, v[3:4]
	global_load_b64 v[5:6], v[1:2], off offset:241664
	s_wait_loadcnt 0x8
	v_add_f64_e64 v[3:4], |v[7:8]|, v[3:4]
	global_load_b64 v[7:8], v[1:2], off offset:243712
	s_wait_loadcnt 0x8
	v_add_f64_e64 v[3:4], |v[10:11]|, v[3:4]
	global_load_b64 v[10:11], v[1:2], off offset:245760
	s_wait_loadcnt 0x8
	v_add_f64_e64 v[3:4], |v[12:13]|, v[3:4]
	global_load_b64 v[12:13], v[1:2], off offset:247808
	s_wait_loadcnt 0x8
	v_add_f64_e64 v[3:4], |v[14:15]|, v[3:4]
	global_load_b64 v[14:15], v[1:2], off offset:249856
	s_wait_loadcnt 0x8
	v_add_f64_e64 v[3:4], |v[16:17]|, v[3:4]
	global_load_b64 v[16:17], v[1:2], off offset:251904
	s_wait_loadcnt 0x8
	v_add_f64_e64 v[3:4], |v[18:19]|, v[3:4]
	global_load_b64 v[18:19], v[1:2], off offset:253952
	s_wait_loadcnt 0x8
	v_add_f64_e64 v[3:4], |v[20:21]|, v[3:4]
	global_load_b64 v[20:21], v[1:2], off offset:256000
	s_wait_loadcnt 0x8
	v_add_f64_e64 v[3:4], |v[22:23]|, v[3:4]
	global_load_b64 v[22:23], v[1:2], off offset:258048
	s_wait_loadcnt 0x8
	v_add_f64_e64 v[3:4], |v[5:6]|, v[3:4]
	global_load_b64 v[5:6], v[1:2], off offset:260096
	s_wait_loadcnt 0x8
	v_add_f64_e64 v[3:4], |v[7:8]|, v[3:4]
	s_wait_loadcnt 0x7
	s_delay_alu instid0(VALU_DEP_1) | instskip(SKIP_1) | instid1(VALU_DEP_1)
	v_add_f64_e64 v[3:4], |v[10:11]|, v[3:4]
	s_wait_loadcnt 0x6
	v_add_f64_e64 v[3:4], |v[12:13]|, v[3:4]
	s_wait_loadcnt 0x5
	s_delay_alu instid0(VALU_DEP_1) | instskip(SKIP_1) | instid1(VALU_DEP_1)
	v_add_f64_e64 v[3:4], |v[14:15]|, v[3:4]
	s_wait_loadcnt 0x4
	v_add_f64_e64 v[3:4], |v[16:17]|, v[3:4]
	s_wait_loadcnt 0x3
	s_delay_alu instid0(VALU_DEP_1) | instskip(SKIP_1) | instid1(VALU_DEP_1)
	v_add_f64_e64 v[3:4], |v[18:19]|, v[3:4]
	s_wait_loadcnt 0x2
	v_add_f64_e64 v[3:4], |v[20:21]|, v[3:4]
	s_wait_loadcnt 0x1
	s_delay_alu instid0(VALU_DEP_1) | instskip(SKIP_1) | instid1(VALU_DEP_1)
	v_add_f64_e64 v[3:4], |v[22:23]|, v[3:4]
	s_wait_loadcnt 0x0
	v_add_f64_e64 v[3:4], |v[5:6]|, v[3:4]
	s_delay_alu instid0(VALU_DEP_1) | instskip(NEXT) | instid1(VALU_DEP_2)
	v_mov_b32_dpp v5, v3 quad_perm:[1,0,3,2] row_mask:0xf bank_mask:0xf
	v_mov_b32_dpp v6, v4 quad_perm:[1,0,3,2] row_mask:0xf bank_mask:0xf
	s_delay_alu instid0(VALU_DEP_1) | instskip(NEXT) | instid1(VALU_DEP_1)
	v_add_f64_e32 v[3:4], v[3:4], v[5:6]
	v_mov_b32_dpp v5, v3 quad_perm:[2,3,0,1] row_mask:0xf bank_mask:0xf
	s_delay_alu instid0(VALU_DEP_2) | instskip(NEXT) | instid1(VALU_DEP_1)
	v_mov_b32_dpp v6, v4 quad_perm:[2,3,0,1] row_mask:0xf bank_mask:0xf
	v_add_f64_e32 v[3:4], v[3:4], v[5:6]
	s_delay_alu instid0(VALU_DEP_1) | instskip(NEXT) | instid1(VALU_DEP_2)
	v_mov_b32_dpp v5, v3 row_ror:4 row_mask:0xf bank_mask:0xf
	v_mov_b32_dpp v6, v4 row_ror:4 row_mask:0xf bank_mask:0xf
	s_delay_alu instid0(VALU_DEP_1) | instskip(NEXT) | instid1(VALU_DEP_1)
	v_add_f64_e32 v[3:4], v[3:4], v[5:6]
	v_mov_b32_dpp v5, v3 row_ror:8 row_mask:0xf bank_mask:0xf
	s_delay_alu instid0(VALU_DEP_2) | instskip(NEXT) | instid1(VALU_DEP_1)
	v_mov_b32_dpp v6, v4 row_ror:8 row_mask:0xf bank_mask:0xf
	v_add_f64_e32 v[3:4], v[3:4], v[5:6]
	ds_swizzle_b32 v5, v3 offset:swizzle(BROADCAST,32,15)
	ds_swizzle_b32 v6, v4 offset:swizzle(BROADCAST,32,15)
	s_wait_dscnt 0x0
	v_add_f64_e32 v[3:4], v[3:4], v[5:6]
	v_mov_b32_e32 v5, 0
	ds_bpermute_b32 v3, v5, v3 offset:124
	ds_bpermute_b32 v4, v5, v4 offset:124
	v_cmpx_eq_u32_e32 0, v9
	s_cbranch_execz .LBB16_3
; %bb.2:
	v_lshrrev_b32_e32 v5, 2, v0
	s_delay_alu instid0(VALU_DEP_1)
	v_and_b32_e32 v5, 56, v5
	s_wait_dscnt 0x0
	ds_store_b64 v5, v[3:4]
.LBB16_3:
	s_wait_alu 0xfffe
	s_or_b32 exec_lo, exec_lo, s1
	s_delay_alu instid0(SALU_CYCLE_1)
	s_mov_b32 s1, exec_lo
	global_wb scope:SCOPE_SE
	s_wait_dscnt 0x0
	s_barrier_signal -1
	s_barrier_wait -1
	global_inv scope:SCOPE_SE
	v_cmpx_gt_u32_e32 32, v0
	s_cbranch_execz .LBB16_5
; %bb.4:
	v_and_b32_e32 v7, 7, v9
	s_delay_alu instid0(VALU_DEP_1) | instskip(SKIP_4) | instid1(VALU_DEP_2)
	v_lshlrev_b32_e32 v3, 3, v7
	v_cmp_ne_u32_e32 vcc_lo, 7, v7
	ds_load_b64 v[3:4], v3
	v_add_co_ci_u32_e32 v5, vcc_lo, 0, v9, vcc_lo
	v_cmp_gt_u32_e32 vcc_lo, 6, v7
	v_lshlrev_b32_e32 v6, 2, v5
	s_wait_dscnt 0x0
	ds_bpermute_b32 v5, v6, v3
	ds_bpermute_b32 v6, v6, v4
	s_wait_dscnt 0x0
	v_add_f64_e32 v[3:4], v[3:4], v[5:6]
	s_wait_alu 0xfffd
	v_cndmask_b32_e64 v5, 0, 1, vcc_lo
	v_cmp_gt_u32_e32 vcc_lo, 4, v7
	s_delay_alu instid0(VALU_DEP_2) | instskip(NEXT) | instid1(VALU_DEP_1)
	v_lshlrev_b32_e32 v5, 1, v5
	v_add_lshl_u32 v6, v5, v9, 2
	ds_bpermute_b32 v5, v6, v3
	ds_bpermute_b32 v6, v6, v4
	s_wait_dscnt 0x0
	v_add_f64_e32 v[3:4], v[3:4], v[5:6]
	s_wait_alu 0xfffd
	v_cndmask_b32_e64 v5, 0, 1, vcc_lo
	s_delay_alu instid0(VALU_DEP_1) | instskip(NEXT) | instid1(VALU_DEP_1)
	v_lshlrev_b32_e32 v5, 2, v5
	v_add_lshl_u32 v6, v5, v9, 2
	ds_bpermute_b32 v5, v6, v3
	ds_bpermute_b32 v6, v6, v4
	s_wait_dscnt 0x0
	v_add_f64_e32 v[3:4], v[3:4], v[5:6]
.LBB16_5:
	s_wait_alu 0xfffe
	s_or_b32 exec_lo, exec_lo, s1
	s_branch .LBB16_284
.LBB16_6:
                                        ; implicit-def: $vgpr3_vgpr4
	s_cbranch_execz .LBB16_284
; %bb.7:
	s_delay_alu instid0(VALU_DEP_1) | instskip(SKIP_3) | instid1(VALU_DEP_4)
	v_readlane_b32 s4, v255, 2
	v_readlane_b32 s5, v255, 3
	;; [unrolled: 1-line block ×4, first 2 shown]
                                        ; implicit-def: $vgpr3_vgpr4
	s_sub_co_i32 s22, s4, s0
	s_mov_b32 s0, exec_lo
	v_cmpx_gt_u32_e64 s22, v0
	s_cbranch_execz .LBB16_9
; %bb.8:
	global_load_b64 v[3:4], v[1:2], off
	s_wait_loadcnt 0x0
	v_and_b32_e32 v4, 0x7fffffff, v4
.LBB16_9:
	s_wait_alu 0xfffe
	s_or_b32 exec_lo, exec_lo, s0
	v_or_b32_e32 v5, 0x100, v0
	s_delay_alu instid0(VALU_DEP_1) | instskip(SKIP_1) | instid1(VALU_DEP_1)
	v_cmp_gt_u32_e64 s1, s22, v5
                                        ; implicit-def: $vgpr5_vgpr6
                                        ; kill: killed $vgpr5_vgpr6
	s_wait_alu 0xf1ff
	v_writelane_b32 v255, s1, 6
	s_and_saveexec_b32 s0, s1
	s_cbranch_execz .LBB16_11
; %bb.10:
	global_load_b64 v[5:6], v[1:2], off offset:2048
	s_wait_loadcnt 0x0
	v_and_b32_e32 v6, 0x7fffffff, v6
	scratch_store_b64 off, v[5:6], off      ; 8-byte Folded Spill
.LBB16_11:
	s_wait_alu 0xfffe
	s_or_b32 exec_lo, exec_lo, s0
	v_or_b32_e32 v5, 0x200, v0
	s_delay_alu instid0(VALU_DEP_1) | instskip(SKIP_1) | instid1(VALU_DEP_1)
	v_cmp_gt_u32_e64 s1, s22, v5
                                        ; implicit-def: $vgpr5_vgpr6
                                        ; kill: killed $vgpr5_vgpr6
	s_wait_alu 0xf1ff
	v_writelane_b32 v255, s1, 7
	s_and_saveexec_b32 s0, s1
	s_cbranch_execz .LBB16_13
; %bb.12:
	global_load_b64 v[5:6], v[1:2], off offset:4096
	s_wait_loadcnt 0x0
	v_and_b32_e32 v6, 0x7fffffff, v6
	scratch_store_b64 off, v[5:6], off offset:8 ; 8-byte Folded Spill
.LBB16_13:
	s_wait_alu 0xfffe
	s_or_b32 exec_lo, exec_lo, s0
	v_or_b32_e32 v5, 0x300, v0
	s_delay_alu instid0(VALU_DEP_1) | instskip(SKIP_1) | instid1(VALU_DEP_1)
	v_cmp_gt_u32_e64 s1, s22, v5
                                        ; implicit-def: $vgpr5_vgpr6
                                        ; kill: killed $vgpr5_vgpr6
	s_wait_alu 0xf1ff
	v_writelane_b32 v255, s1, 8
	s_and_saveexec_b32 s0, s1
	s_cbranch_execz .LBB16_15
; %bb.14:
	global_load_b64 v[5:6], v[1:2], off offset:6144
	s_wait_loadcnt 0x0
	v_and_b32_e32 v6, 0x7fffffff, v6
	scratch_store_b64 off, v[5:6], off offset:16 ; 8-byte Folded Spill
.LBB16_15:
	s_wait_alu 0xfffe
	s_or_b32 exec_lo, exec_lo, s0
	v_or_b32_e32 v5, 0x400, v0
                                        ; implicit-def: $vgpr11_vgpr12
	s_delay_alu instid0(VALU_DEP_1) | instskip(SKIP_1) | instid1(VALU_DEP_1)
	v_cmp_gt_u32_e64 s1, s22, v5
	s_wait_alu 0xf1ff
	v_writelane_b32 v255, s1, 9
	s_and_saveexec_b32 s0, s1
	s_cbranch_execz .LBB16_17
; %bb.16:
	global_load_b64 v[11:12], v[1:2], off offset:8192
	s_wait_loadcnt 0x0
	v_and_b32_e32 v12, 0x7fffffff, v12
.LBB16_17:
	s_wait_alu 0xfffe
	s_or_b32 exec_lo, exec_lo, s0
	v_or_b32_e32 v5, 0x500, v0
                                        ; implicit-def: $vgpr13_vgpr14
	s_delay_alu instid0(VALU_DEP_1) | instskip(SKIP_1) | instid1(VALU_DEP_1)
	v_cmp_gt_u32_e64 s1, s22, v5
	s_wait_alu 0xf1ff
	v_writelane_b32 v255, s1, 10
	s_and_saveexec_b32 s0, s1
	s_cbranch_execz .LBB16_19
; %bb.18:
	global_load_b64 v[13:14], v[1:2], off offset:10240
	s_wait_loadcnt 0x0
	v_and_b32_e32 v14, 0x7fffffff, v14
.LBB16_19:
	s_wait_alu 0xfffe
	s_or_b32 exec_lo, exec_lo, s0
	v_or_b32_e32 v5, 0x600, v0
                                        ; implicit-def: $vgpr15_vgpr16
	s_delay_alu instid0(VALU_DEP_1) | instskip(SKIP_1) | instid1(VALU_DEP_1)
	v_cmp_gt_u32_e64 s1, s22, v5
	s_wait_alu 0xf1ff
	v_writelane_b32 v255, s1, 11
	s_and_saveexec_b32 s0, s1
	s_cbranch_execz .LBB16_21
; %bb.20:
	global_load_b64 v[15:16], v[1:2], off offset:12288
	s_wait_loadcnt 0x0
	v_and_b32_e32 v16, 0x7fffffff, v16
.LBB16_21:
	s_wait_alu 0xfffe
	s_or_b32 exec_lo, exec_lo, s0
	v_or_b32_e32 v5, 0x700, v0
                                        ; implicit-def: $vgpr17_vgpr18
	s_delay_alu instid0(VALU_DEP_1) | instskip(SKIP_1) | instid1(VALU_DEP_1)
	v_cmp_gt_u32_e64 s1, s22, v5
	s_wait_alu 0xf1ff
	v_writelane_b32 v255, s1, 12
	s_and_saveexec_b32 s0, s1
	s_cbranch_execz .LBB16_23
; %bb.22:
	global_load_b64 v[17:18], v[1:2], off offset:14336
	s_wait_loadcnt 0x0
	v_and_b32_e32 v18, 0x7fffffff, v18
.LBB16_23:
	s_wait_alu 0xfffe
	s_or_b32 exec_lo, exec_lo, s0
	v_or_b32_e32 v5, 0x800, v0
                                        ; implicit-def: $vgpr19_vgpr20
	s_delay_alu instid0(VALU_DEP_1) | instskip(SKIP_1) | instid1(VALU_DEP_1)
	v_cmp_gt_u32_e64 s1, s22, v5
	s_wait_alu 0xf1ff
	v_writelane_b32 v255, s1, 13
	s_and_saveexec_b32 s0, s1
	s_cbranch_execz .LBB16_25
; %bb.24:
	global_load_b64 v[19:20], v[1:2], off offset:16384
	s_wait_loadcnt 0x0
	v_and_b32_e32 v20, 0x7fffffff, v20
.LBB16_25:
	s_wait_alu 0xfffe
	s_or_b32 exec_lo, exec_lo, s0
	v_or_b32_e32 v5, 0x900, v0
                                        ; implicit-def: $vgpr21_vgpr22
	s_delay_alu instid0(VALU_DEP_1) | instskip(SKIP_1) | instid1(VALU_DEP_1)
	v_cmp_gt_u32_e64 s1, s22, v5
	s_wait_alu 0xf1ff
	v_writelane_b32 v255, s1, 14
	s_and_saveexec_b32 s0, s1
	s_cbranch_execz .LBB16_27
; %bb.26:
	global_load_b64 v[21:22], v[1:2], off offset:18432
	s_wait_loadcnt 0x0
	v_and_b32_e32 v22, 0x7fffffff, v22
.LBB16_27:
	s_wait_alu 0xfffe
	s_or_b32 exec_lo, exec_lo, s0
	v_or_b32_e32 v5, 0xa00, v0
                                        ; implicit-def: $vgpr23_vgpr24
	s_delay_alu instid0(VALU_DEP_1) | instskip(SKIP_1) | instid1(VALU_DEP_1)
	v_cmp_gt_u32_e64 s1, s22, v5
	s_wait_alu 0xf1ff
	v_writelane_b32 v255, s1, 15
	s_and_saveexec_b32 s0, s1
	s_cbranch_execz .LBB16_29
; %bb.28:
	global_load_b64 v[23:24], v[1:2], off offset:20480
	s_wait_loadcnt 0x0
	v_and_b32_e32 v24, 0x7fffffff, v24
.LBB16_29:
	s_wait_alu 0xfffe
	s_or_b32 exec_lo, exec_lo, s0
	v_or_b32_e32 v5, 0xb00, v0
                                        ; implicit-def: $vgpr25_vgpr26
	s_delay_alu instid0(VALU_DEP_1) | instskip(SKIP_1) | instid1(VALU_DEP_1)
	v_cmp_gt_u32_e64 s1, s22, v5
	s_wait_alu 0xf1ff
	v_writelane_b32 v255, s1, 16
	s_and_saveexec_b32 s0, s1
	s_cbranch_execz .LBB16_31
; %bb.30:
	global_load_b64 v[25:26], v[1:2], off offset:22528
	s_wait_loadcnt 0x0
	v_and_b32_e32 v26, 0x7fffffff, v26
.LBB16_31:
	s_wait_alu 0xfffe
	s_or_b32 exec_lo, exec_lo, s0
	v_or_b32_e32 v5, 0xc00, v0
                                        ; implicit-def: $vgpr27_vgpr28
	s_delay_alu instid0(VALU_DEP_1) | instskip(SKIP_1) | instid1(VALU_DEP_1)
	v_cmp_gt_u32_e64 s1, s22, v5
	s_wait_alu 0xf1ff
	v_writelane_b32 v255, s1, 17
	s_and_saveexec_b32 s0, s1
	s_cbranch_execz .LBB16_33
; %bb.32:
	global_load_b64 v[27:28], v[1:2], off offset:24576
	s_wait_loadcnt 0x0
	v_and_b32_e32 v28, 0x7fffffff, v28
.LBB16_33:
	s_wait_alu 0xfffe
	s_or_b32 exec_lo, exec_lo, s0
	v_or_b32_e32 v5, 0xd00, v0
                                        ; implicit-def: $vgpr29_vgpr30
	s_delay_alu instid0(VALU_DEP_1) | instskip(SKIP_1) | instid1(VALU_DEP_1)
	v_cmp_gt_u32_e64 s1, s22, v5
	s_wait_alu 0xf1ff
	v_writelane_b32 v255, s1, 18
	s_and_saveexec_b32 s0, s1
	s_cbranch_execz .LBB16_35
; %bb.34:
	global_load_b64 v[29:30], v[1:2], off offset:26624
	s_wait_loadcnt 0x0
	v_and_b32_e32 v30, 0x7fffffff, v30
.LBB16_35:
	s_wait_alu 0xfffe
	s_or_b32 exec_lo, exec_lo, s0
	v_or_b32_e32 v5, 0xe00, v0
                                        ; implicit-def: $vgpr31_vgpr32
	s_delay_alu instid0(VALU_DEP_1) | instskip(SKIP_1) | instid1(VALU_DEP_1)
	v_cmp_gt_u32_e64 s1, s22, v5
	s_wait_alu 0xf1ff
	v_writelane_b32 v255, s1, 19
	s_and_saveexec_b32 s0, s1
	s_cbranch_execz .LBB16_37
; %bb.36:
	global_load_b64 v[31:32], v[1:2], off offset:28672
	s_wait_loadcnt 0x0
	v_and_b32_e32 v32, 0x7fffffff, v32
.LBB16_37:
	s_wait_alu 0xfffe
	s_or_b32 exec_lo, exec_lo, s0
	v_or_b32_e32 v5, 0xf00, v0
                                        ; implicit-def: $vgpr33_vgpr34
	s_delay_alu instid0(VALU_DEP_1) | instskip(SKIP_1) | instid1(VALU_DEP_1)
	v_cmp_gt_u32_e64 s1, s22, v5
	s_wait_alu 0xf1ff
	v_writelane_b32 v255, s1, 20
	s_and_saveexec_b32 s0, s1
	s_cbranch_execz .LBB16_39
; %bb.38:
	global_load_b64 v[33:34], v[1:2], off offset:30720
	s_wait_loadcnt 0x0
	v_and_b32_e32 v34, 0x7fffffff, v34
.LBB16_39:
	s_wait_alu 0xfffe
	s_or_b32 exec_lo, exec_lo, s0
	v_or_b32_e32 v5, 0x1000, v0
                                        ; implicit-def: $vgpr35_vgpr36
	s_delay_alu instid0(VALU_DEP_1) | instskip(SKIP_1) | instid1(VALU_DEP_1)
	v_cmp_gt_u32_e64 s1, s22, v5
	s_wait_alu 0xf1ff
	v_writelane_b32 v255, s1, 21
	s_and_saveexec_b32 s0, s1
	s_cbranch_execz .LBB16_41
; %bb.40:
	global_load_b64 v[35:36], v[1:2], off offset:32768
	s_wait_loadcnt 0x0
	v_and_b32_e32 v36, 0x7fffffff, v36
.LBB16_41:
	s_wait_alu 0xfffe
	s_or_b32 exec_lo, exec_lo, s0
	v_or_b32_e32 v5, 0x1100, v0
                                        ; implicit-def: $vgpr37_vgpr38
	s_delay_alu instid0(VALU_DEP_1) | instskip(SKIP_1) | instid1(VALU_DEP_1)
	v_cmp_gt_u32_e64 s1, s22, v5
	s_wait_alu 0xf1ff
	v_writelane_b32 v255, s1, 22
	s_and_saveexec_b32 s0, s1
	s_cbranch_execz .LBB16_43
; %bb.42:
	global_load_b64 v[37:38], v[1:2], off offset:34816
	s_wait_loadcnt 0x0
	v_and_b32_e32 v38, 0x7fffffff, v38
.LBB16_43:
	s_wait_alu 0xfffe
	s_or_b32 exec_lo, exec_lo, s0
	v_or_b32_e32 v5, 0x1200, v0
                                        ; implicit-def: $vgpr39_vgpr40
	s_delay_alu instid0(VALU_DEP_1) | instskip(SKIP_1) | instid1(VALU_DEP_1)
	v_cmp_gt_u32_e64 s1, s22, v5
	s_wait_alu 0xf1ff
	v_writelane_b32 v255, s1, 23
	s_and_saveexec_b32 s0, s1
	s_cbranch_execz .LBB16_45
; %bb.44:
	global_load_b64 v[39:40], v[1:2], off offset:36864
	s_wait_loadcnt 0x0
	v_and_b32_e32 v40, 0x7fffffff, v40
.LBB16_45:
	s_wait_alu 0xfffe
	s_or_b32 exec_lo, exec_lo, s0
	v_or_b32_e32 v5, 0x1300, v0
                                        ; implicit-def: $vgpr41_vgpr42
	s_delay_alu instid0(VALU_DEP_1) | instskip(SKIP_1) | instid1(VALU_DEP_1)
	v_cmp_gt_u32_e64 s1, s22, v5
	s_wait_alu 0xf1ff
	v_writelane_b32 v255, s1, 24
	s_and_saveexec_b32 s0, s1
	s_cbranch_execz .LBB16_47
; %bb.46:
	global_load_b64 v[41:42], v[1:2], off offset:38912
	s_wait_loadcnt 0x0
	v_and_b32_e32 v42, 0x7fffffff, v42
.LBB16_47:
	s_wait_alu 0xfffe
	s_or_b32 exec_lo, exec_lo, s0
	v_or_b32_e32 v5, 0x1400, v0
                                        ; implicit-def: $vgpr43_vgpr44
	s_delay_alu instid0(VALU_DEP_1) | instskip(SKIP_1) | instid1(VALU_DEP_1)
	v_cmp_gt_u32_e64 s1, s22, v5
	s_wait_alu 0xf1ff
	v_writelane_b32 v255, s1, 25
	s_and_saveexec_b32 s0, s1
	s_cbranch_execz .LBB16_49
; %bb.48:
	global_load_b64 v[43:44], v[1:2], off offset:40960
	s_wait_loadcnt 0x0
	v_and_b32_e32 v44, 0x7fffffff, v44
.LBB16_49:
	s_wait_alu 0xfffe
	s_or_b32 exec_lo, exec_lo, s0
	v_or_b32_e32 v5, 0x1500, v0
                                        ; implicit-def: $vgpr45_vgpr46
	s_delay_alu instid0(VALU_DEP_1) | instskip(SKIP_1) | instid1(VALU_DEP_1)
	v_cmp_gt_u32_e64 s1, s22, v5
	s_wait_alu 0xf1ff
	v_writelane_b32 v255, s1, 26
	s_and_saveexec_b32 s0, s1
	s_cbranch_execz .LBB16_51
; %bb.50:
	global_load_b64 v[45:46], v[1:2], off offset:43008
	s_wait_loadcnt 0x0
	v_and_b32_e32 v46, 0x7fffffff, v46
.LBB16_51:
	s_wait_alu 0xfffe
	s_or_b32 exec_lo, exec_lo, s0
	v_or_b32_e32 v5, 0x1600, v0
                                        ; implicit-def: $vgpr47_vgpr48
	s_delay_alu instid0(VALU_DEP_1) | instskip(SKIP_1) | instid1(VALU_DEP_1)
	v_cmp_gt_u32_e64 s1, s22, v5
	s_wait_alu 0xf1ff
	v_writelane_b32 v255, s1, 27
	s_and_saveexec_b32 s0, s1
	s_cbranch_execz .LBB16_53
; %bb.52:
	global_load_b64 v[47:48], v[1:2], off offset:45056
	s_wait_loadcnt 0x0
	v_and_b32_e32 v48, 0x7fffffff, v48
.LBB16_53:
	s_wait_alu 0xfffe
	s_or_b32 exec_lo, exec_lo, s0
	v_or_b32_e32 v5, 0x1700, v0
                                        ; implicit-def: $vgpr49_vgpr50
	s_delay_alu instid0(VALU_DEP_1) | instskip(SKIP_1) | instid1(VALU_DEP_1)
	v_cmp_gt_u32_e64 s1, s22, v5
	s_wait_alu 0xf1ff
	v_writelane_b32 v255, s1, 28
	s_and_saveexec_b32 s0, s1
	s_cbranch_execz .LBB16_55
; %bb.54:
	global_load_b64 v[49:50], v[1:2], off offset:47104
	s_wait_loadcnt 0x0
	v_and_b32_e32 v50, 0x7fffffff, v50
.LBB16_55:
	s_wait_alu 0xfffe
	s_or_b32 exec_lo, exec_lo, s0
	v_or_b32_e32 v5, 0x1800, v0
                                        ; implicit-def: $vgpr51_vgpr52
	s_delay_alu instid0(VALU_DEP_1) | instskip(SKIP_1) | instid1(VALU_DEP_1)
	v_cmp_gt_u32_e64 s1, s22, v5
	s_wait_alu 0xf1ff
	v_writelane_b32 v255, s1, 29
	s_and_saveexec_b32 s0, s1
	s_cbranch_execz .LBB16_57
; %bb.56:
	global_load_b64 v[51:52], v[1:2], off offset:49152
	s_wait_loadcnt 0x0
	v_and_b32_e32 v52, 0x7fffffff, v52
.LBB16_57:
	s_wait_alu 0xfffe
	s_or_b32 exec_lo, exec_lo, s0
	v_or_b32_e32 v5, 0x1900, v0
                                        ; implicit-def: $vgpr53_vgpr54
	s_delay_alu instid0(VALU_DEP_1) | instskip(SKIP_1) | instid1(VALU_DEP_1)
	v_cmp_gt_u32_e64 s1, s22, v5
	s_wait_alu 0xf1ff
	v_writelane_b32 v255, s1, 30
	s_and_saveexec_b32 s0, s1
	s_cbranch_execz .LBB16_59
; %bb.58:
	global_load_b64 v[53:54], v[1:2], off offset:51200
	s_wait_loadcnt 0x0
	v_and_b32_e32 v54, 0x7fffffff, v54
.LBB16_59:
	s_wait_alu 0xfffe
	s_or_b32 exec_lo, exec_lo, s0
	v_or_b32_e32 v5, 0x1a00, v0
                                        ; implicit-def: $vgpr55_vgpr56
	s_delay_alu instid0(VALU_DEP_1) | instskip(SKIP_1) | instid1(VALU_DEP_1)
	v_cmp_gt_u32_e64 s1, s22, v5
	s_wait_alu 0xf1ff
	v_writelane_b32 v255, s1, 31
	s_and_saveexec_b32 s0, s1
	s_cbranch_execz .LBB16_61
; %bb.60:
	global_load_b64 v[55:56], v[1:2], off offset:53248
	s_wait_loadcnt 0x0
	v_and_b32_e32 v56, 0x7fffffff, v56
.LBB16_61:
	s_wait_alu 0xfffe
	s_or_b32 exec_lo, exec_lo, s0
	v_or_b32_e32 v5, 0x1b00, v0
                                        ; implicit-def: $vgpr57_vgpr58
	s_delay_alu instid0(VALU_DEP_1) | instskip(NEXT) | instid1(VALU_DEP_1)
	v_cmp_gt_u32_e64 s25, s22, v5
	s_and_saveexec_b32 s0, s25
	s_cbranch_execz .LBB16_63
; %bb.62:
	global_load_b64 v[57:58], v[1:2], off offset:55296
	s_wait_loadcnt 0x0
	v_and_b32_e32 v58, 0x7fffffff, v58
.LBB16_63:
	s_wait_alu 0xfffe
	s_or_b32 exec_lo, exec_lo, s0
	v_or_b32_e32 v5, 0x1c00, v0
                                        ; implicit-def: $vgpr59_vgpr60
	s_delay_alu instid0(VALU_DEP_1) | instskip(NEXT) | instid1(VALU_DEP_1)
	v_cmp_gt_u32_e64 s26, s22, v5
	s_and_saveexec_b32 s0, s26
	s_cbranch_execz .LBB16_65
; %bb.64:
	global_load_b64 v[59:60], v[1:2], off offset:57344
	s_wait_loadcnt 0x0
	v_and_b32_e32 v60, 0x7fffffff, v60
.LBB16_65:
	s_wait_alu 0xfffe
	s_or_b32 exec_lo, exec_lo, s0
	v_or_b32_e32 v5, 0x1d00, v0
                                        ; implicit-def: $vgpr61_vgpr62
	s_delay_alu instid0(VALU_DEP_1) | instskip(NEXT) | instid1(VALU_DEP_1)
	v_cmp_gt_u32_e64 s27, s22, v5
	s_and_saveexec_b32 s0, s27
	s_cbranch_execz .LBB16_67
; %bb.66:
	global_load_b64 v[61:62], v[1:2], off offset:59392
	s_wait_loadcnt 0x0
	v_and_b32_e32 v62, 0x7fffffff, v62
.LBB16_67:
	s_wait_alu 0xfffe
	s_or_b32 exec_lo, exec_lo, s0
	v_or_b32_e32 v5, 0x1e00, v0
                                        ; implicit-def: $vgpr63_vgpr64
	s_delay_alu instid0(VALU_DEP_1) | instskip(NEXT) | instid1(VALU_DEP_1)
	v_cmp_gt_u32_e64 s28, s22, v5
	s_and_saveexec_b32 s0, s28
	s_cbranch_execz .LBB16_69
; %bb.68:
	global_load_b64 v[63:64], v[1:2], off offset:61440
	s_wait_loadcnt 0x0
	v_and_b32_e32 v64, 0x7fffffff, v64
.LBB16_69:
	s_wait_alu 0xfffe
	s_or_b32 exec_lo, exec_lo, s0
	v_or_b32_e32 v5, 0x1f00, v0
                                        ; implicit-def: $vgpr65_vgpr66
	s_delay_alu instid0(VALU_DEP_1) | instskip(NEXT) | instid1(VALU_DEP_1)
	v_cmp_gt_u32_e64 s29, s22, v5
	s_and_saveexec_b32 s0, s29
	s_cbranch_execz .LBB16_71
; %bb.70:
	global_load_b64 v[65:66], v[1:2], off offset:63488
	s_wait_loadcnt 0x0
	v_and_b32_e32 v66, 0x7fffffff, v66
.LBB16_71:
	s_wait_alu 0xfffe
	s_or_b32 exec_lo, exec_lo, s0
	v_or_b32_e32 v5, 0x2000, v0
                                        ; implicit-def: $vgpr67_vgpr68
	s_delay_alu instid0(VALU_DEP_1) | instskip(NEXT) | instid1(VALU_DEP_1)
	v_cmp_gt_u32_e64 s30, s22, v5
	s_and_saveexec_b32 s0, s30
	s_cbranch_execz .LBB16_73
; %bb.72:
	global_load_b64 v[67:68], v[1:2], off offset:65536
	s_wait_loadcnt 0x0
	v_and_b32_e32 v68, 0x7fffffff, v68
.LBB16_73:
	s_wait_alu 0xfffe
	s_or_b32 exec_lo, exec_lo, s0
	v_or_b32_e32 v5, 0x2100, v0
                                        ; implicit-def: $vgpr69_vgpr70
	s_delay_alu instid0(VALU_DEP_1) | instskip(NEXT) | instid1(VALU_DEP_1)
	v_cmp_gt_u32_e64 s31, s22, v5
	s_and_saveexec_b32 s0, s31
	s_cbranch_execz .LBB16_75
; %bb.74:
	global_load_b64 v[69:70], v[1:2], off offset:67584
	s_wait_loadcnt 0x0
	v_and_b32_e32 v70, 0x7fffffff, v70
.LBB16_75:
	s_wait_alu 0xfffe
	s_or_b32 exec_lo, exec_lo, s0
	v_or_b32_e32 v5, 0x2200, v0
                                        ; implicit-def: $vgpr71_vgpr72
	s_delay_alu instid0(VALU_DEP_1) | instskip(NEXT) | instid1(VALU_DEP_1)
	v_cmp_gt_u32_e64 s33, s22, v5
	s_and_saveexec_b32 s0, s33
	s_cbranch_execz .LBB16_77
; %bb.76:
	global_load_b64 v[71:72], v[1:2], off offset:69632
	s_wait_loadcnt 0x0
	v_and_b32_e32 v72, 0x7fffffff, v72
.LBB16_77:
	s_wait_alu 0xfffe
	s_or_b32 exec_lo, exec_lo, s0
	v_or_b32_e32 v5, 0x2300, v0
                                        ; implicit-def: $vgpr73_vgpr74
	s_delay_alu instid0(VALU_DEP_1) | instskip(NEXT) | instid1(VALU_DEP_1)
	v_cmp_gt_u32_e64 s34, s22, v5
	s_and_saveexec_b32 s0, s34
	s_cbranch_execz .LBB16_79
; %bb.78:
	global_load_b64 v[73:74], v[1:2], off offset:71680
	s_wait_loadcnt 0x0
	v_and_b32_e32 v74, 0x7fffffff, v74
.LBB16_79:
	s_wait_alu 0xfffe
	s_or_b32 exec_lo, exec_lo, s0
	v_or_b32_e32 v5, 0x2400, v0
                                        ; implicit-def: $vgpr75_vgpr76
	s_delay_alu instid0(VALU_DEP_1) | instskip(NEXT) | instid1(VALU_DEP_1)
	v_cmp_gt_u32_e64 s35, s22, v5
	s_and_saveexec_b32 s0, s35
	s_cbranch_execz .LBB16_81
; %bb.80:
	global_load_b64 v[75:76], v[1:2], off offset:73728
	s_wait_loadcnt 0x0
	v_and_b32_e32 v76, 0x7fffffff, v76
.LBB16_81:
	s_wait_alu 0xfffe
	s_or_b32 exec_lo, exec_lo, s0
	v_or_b32_e32 v5, 0x2500, v0
                                        ; implicit-def: $vgpr77_vgpr78
	s_delay_alu instid0(VALU_DEP_1) | instskip(NEXT) | instid1(VALU_DEP_1)
	v_cmp_gt_u32_e64 s36, s22, v5
	s_and_saveexec_b32 s0, s36
	s_cbranch_execz .LBB16_83
; %bb.82:
	global_load_b64 v[77:78], v[1:2], off offset:75776
	s_wait_loadcnt 0x0
	v_and_b32_e32 v78, 0x7fffffff, v78
.LBB16_83:
	s_wait_alu 0xfffe
	s_or_b32 exec_lo, exec_lo, s0
	v_or_b32_e32 v5, 0x2600, v0
                                        ; implicit-def: $vgpr79_vgpr80
	s_delay_alu instid0(VALU_DEP_1) | instskip(NEXT) | instid1(VALU_DEP_1)
	v_cmp_gt_u32_e64 s37, s22, v5
	s_and_saveexec_b32 s0, s37
	s_cbranch_execz .LBB16_85
; %bb.84:
	global_load_b64 v[79:80], v[1:2], off offset:77824
	s_wait_loadcnt 0x0
	v_and_b32_e32 v80, 0x7fffffff, v80
.LBB16_85:
	s_wait_alu 0xfffe
	s_or_b32 exec_lo, exec_lo, s0
	v_or_b32_e32 v5, 0x2700, v0
                                        ; implicit-def: $vgpr81_vgpr82
	s_delay_alu instid0(VALU_DEP_1) | instskip(NEXT) | instid1(VALU_DEP_1)
	v_cmp_gt_u32_e64 s38, s22, v5
	s_and_saveexec_b32 s0, s38
	s_cbranch_execz .LBB16_87
; %bb.86:
	global_load_b64 v[81:82], v[1:2], off offset:79872
	s_wait_loadcnt 0x0
	v_and_b32_e32 v82, 0x7fffffff, v82
.LBB16_87:
	s_wait_alu 0xfffe
	s_or_b32 exec_lo, exec_lo, s0
	v_or_b32_e32 v5, 0x2800, v0
                                        ; implicit-def: $vgpr83_vgpr84
	s_delay_alu instid0(VALU_DEP_1) | instskip(NEXT) | instid1(VALU_DEP_1)
	v_cmp_gt_u32_e64 s39, s22, v5
	s_and_saveexec_b32 s0, s39
	s_cbranch_execz .LBB16_89
; %bb.88:
	global_load_b64 v[83:84], v[1:2], off offset:81920
	s_wait_loadcnt 0x0
	v_and_b32_e32 v84, 0x7fffffff, v84
.LBB16_89:
	s_wait_alu 0xfffe
	s_or_b32 exec_lo, exec_lo, s0
	v_or_b32_e32 v5, 0x2900, v0
                                        ; implicit-def: $vgpr85_vgpr86
	s_delay_alu instid0(VALU_DEP_1) | instskip(NEXT) | instid1(VALU_DEP_1)
	v_cmp_gt_u32_e64 s40, s22, v5
	s_and_saveexec_b32 s0, s40
	s_cbranch_execz .LBB16_91
; %bb.90:
	global_load_b64 v[85:86], v[1:2], off offset:83968
	s_wait_loadcnt 0x0
	v_and_b32_e32 v86, 0x7fffffff, v86
.LBB16_91:
	s_wait_alu 0xfffe
	s_or_b32 exec_lo, exec_lo, s0
	v_or_b32_e32 v5, 0x2a00, v0
                                        ; implicit-def: $vgpr87_vgpr88
	s_delay_alu instid0(VALU_DEP_1) | instskip(NEXT) | instid1(VALU_DEP_1)
	v_cmp_gt_u32_e64 s41, s22, v5
	s_and_saveexec_b32 s0, s41
	s_cbranch_execz .LBB16_93
; %bb.92:
	global_load_b64 v[87:88], v[1:2], off offset:86016
	s_wait_loadcnt 0x0
	v_and_b32_e32 v88, 0x7fffffff, v88
.LBB16_93:
	s_wait_alu 0xfffe
	s_or_b32 exec_lo, exec_lo, s0
	v_or_b32_e32 v5, 0x2b00, v0
                                        ; implicit-def: $vgpr89_vgpr90
	s_delay_alu instid0(VALU_DEP_1) | instskip(NEXT) | instid1(VALU_DEP_1)
	v_cmp_gt_u32_e64 s42, s22, v5
	s_and_saveexec_b32 s0, s42
	s_cbranch_execz .LBB16_95
; %bb.94:
	global_load_b64 v[89:90], v[1:2], off offset:88064
	s_wait_loadcnt 0x0
	v_and_b32_e32 v90, 0x7fffffff, v90
.LBB16_95:
	s_wait_alu 0xfffe
	s_or_b32 exec_lo, exec_lo, s0
	v_or_b32_e32 v5, 0x2c00, v0
                                        ; implicit-def: $vgpr91_vgpr92
	s_delay_alu instid0(VALU_DEP_1) | instskip(NEXT) | instid1(VALU_DEP_1)
	v_cmp_gt_u32_e64 s43, s22, v5
	s_and_saveexec_b32 s0, s43
	s_cbranch_execz .LBB16_97
; %bb.96:
	global_load_b64 v[91:92], v[1:2], off offset:90112
	s_wait_loadcnt 0x0
	v_and_b32_e32 v92, 0x7fffffff, v92
.LBB16_97:
	s_wait_alu 0xfffe
	s_or_b32 exec_lo, exec_lo, s0
	v_or_b32_e32 v5, 0x2d00, v0
                                        ; implicit-def: $vgpr93_vgpr94
	s_delay_alu instid0(VALU_DEP_1) | instskip(NEXT) | instid1(VALU_DEP_1)
	v_cmp_gt_u32_e64 s44, s22, v5
	s_and_saveexec_b32 s0, s44
	s_cbranch_execz .LBB16_99
; %bb.98:
	global_load_b64 v[93:94], v[1:2], off offset:92160
	s_wait_loadcnt 0x0
	v_and_b32_e32 v94, 0x7fffffff, v94
.LBB16_99:
	s_wait_alu 0xfffe
	s_or_b32 exec_lo, exec_lo, s0
	v_or_b32_e32 v5, 0x2e00, v0
                                        ; implicit-def: $vgpr95_vgpr96
	s_delay_alu instid0(VALU_DEP_1) | instskip(NEXT) | instid1(VALU_DEP_1)
	v_cmp_gt_u32_e64 s45, s22, v5
	s_and_saveexec_b32 s0, s45
	s_cbranch_execz .LBB16_101
; %bb.100:
	global_load_b64 v[95:96], v[1:2], off offset:94208
	s_wait_loadcnt 0x0
	v_and_b32_e32 v96, 0x7fffffff, v96
.LBB16_101:
	s_wait_alu 0xfffe
	s_or_b32 exec_lo, exec_lo, s0
	v_or_b32_e32 v5, 0x2f00, v0
                                        ; implicit-def: $vgpr97_vgpr98
	s_delay_alu instid0(VALU_DEP_1) | instskip(NEXT) | instid1(VALU_DEP_1)
	v_cmp_gt_u32_e64 s46, s22, v5
	s_and_saveexec_b32 s0, s46
	s_cbranch_execz .LBB16_103
; %bb.102:
	global_load_b64 v[97:98], v[1:2], off offset:96256
	s_wait_loadcnt 0x0
	v_and_b32_e32 v98, 0x7fffffff, v98
.LBB16_103:
	s_wait_alu 0xfffe
	s_or_b32 exec_lo, exec_lo, s0
	v_or_b32_e32 v5, 0x3000, v0
                                        ; implicit-def: $vgpr99_vgpr100
	s_delay_alu instid0(VALU_DEP_1) | instskip(NEXT) | instid1(VALU_DEP_1)
	v_cmp_gt_u32_e64 s47, s22, v5
	s_and_saveexec_b32 s0, s47
	s_cbranch_execz .LBB16_105
; %bb.104:
	global_load_b64 v[99:100], v[1:2], off offset:98304
	s_wait_loadcnt 0x0
	v_and_b32_e32 v100, 0x7fffffff, v100
.LBB16_105:
	s_wait_alu 0xfffe
	s_or_b32 exec_lo, exec_lo, s0
	v_or_b32_e32 v5, 0x3100, v0
                                        ; implicit-def: $vgpr101_vgpr102
	s_delay_alu instid0(VALU_DEP_1) | instskip(NEXT) | instid1(VALU_DEP_1)
	v_cmp_gt_u32_e64 s48, s22, v5
	s_and_saveexec_b32 s0, s48
	s_cbranch_execz .LBB16_107
; %bb.106:
	global_load_b64 v[101:102], v[1:2], off offset:100352
	s_wait_loadcnt 0x0
	v_and_b32_e32 v102, 0x7fffffff, v102
.LBB16_107:
	s_wait_alu 0xfffe
	s_or_b32 exec_lo, exec_lo, s0
	v_or_b32_e32 v5, 0x3200, v0
                                        ; implicit-def: $vgpr103_vgpr104
	s_delay_alu instid0(VALU_DEP_1) | instskip(NEXT) | instid1(VALU_DEP_1)
	v_cmp_gt_u32_e64 s49, s22, v5
	s_and_saveexec_b32 s0, s49
	s_cbranch_execz .LBB16_109
; %bb.108:
	global_load_b64 v[103:104], v[1:2], off offset:102400
	s_wait_loadcnt 0x0
	v_and_b32_e32 v104, 0x7fffffff, v104
.LBB16_109:
	s_wait_alu 0xfffe
	s_or_b32 exec_lo, exec_lo, s0
	v_or_b32_e32 v5, 0x3300, v0
                                        ; implicit-def: $vgpr105_vgpr106
	s_delay_alu instid0(VALU_DEP_1) | instskip(NEXT) | instid1(VALU_DEP_1)
	v_cmp_gt_u32_e64 s50, s22, v5
	s_and_saveexec_b32 s0, s50
	s_cbranch_execz .LBB16_111
; %bb.110:
	global_load_b64 v[105:106], v[1:2], off offset:104448
	s_wait_loadcnt 0x0
	v_and_b32_e32 v106, 0x7fffffff, v106
.LBB16_111:
	s_wait_alu 0xfffe
	s_or_b32 exec_lo, exec_lo, s0
	v_or_b32_e32 v5, 0x3400, v0
                                        ; implicit-def: $vgpr107_vgpr108
	s_delay_alu instid0(VALU_DEP_1) | instskip(NEXT) | instid1(VALU_DEP_1)
	v_cmp_gt_u32_e64 s51, s22, v5
	s_and_saveexec_b32 s0, s51
	s_cbranch_execz .LBB16_113
; %bb.112:
	global_load_b64 v[107:108], v[1:2], off offset:106496
	s_wait_loadcnt 0x0
	v_and_b32_e32 v108, 0x7fffffff, v108
.LBB16_113:
	s_wait_alu 0xfffe
	s_or_b32 exec_lo, exec_lo, s0
	v_or_b32_e32 v5, 0x3500, v0
                                        ; implicit-def: $vgpr109_vgpr110
	s_delay_alu instid0(VALU_DEP_1) | instskip(NEXT) | instid1(VALU_DEP_1)
	v_cmp_gt_u32_e64 s52, s22, v5
	s_and_saveexec_b32 s0, s52
	s_cbranch_execz .LBB16_115
; %bb.114:
	global_load_b64 v[109:110], v[1:2], off offset:108544
	s_wait_loadcnt 0x0
	v_and_b32_e32 v110, 0x7fffffff, v110
.LBB16_115:
	s_wait_alu 0xfffe
	s_or_b32 exec_lo, exec_lo, s0
	v_or_b32_e32 v5, 0x3600, v0
                                        ; implicit-def: $vgpr111_vgpr112
	s_delay_alu instid0(VALU_DEP_1) | instskip(NEXT) | instid1(VALU_DEP_1)
	v_cmp_gt_u32_e64 s53, s22, v5
	s_and_saveexec_b32 s0, s53
	s_cbranch_execz .LBB16_117
; %bb.116:
	global_load_b64 v[111:112], v[1:2], off offset:110592
	s_wait_loadcnt 0x0
	v_and_b32_e32 v112, 0x7fffffff, v112
.LBB16_117:
	s_wait_alu 0xfffe
	s_or_b32 exec_lo, exec_lo, s0
	v_or_b32_e32 v5, 0x3700, v0
                                        ; implicit-def: $vgpr113_vgpr114
	s_delay_alu instid0(VALU_DEP_1) | instskip(NEXT) | instid1(VALU_DEP_1)
	v_cmp_gt_u32_e64 s54, s22, v5
	s_and_saveexec_b32 s0, s54
	s_cbranch_execz .LBB16_119
; %bb.118:
	global_load_b64 v[113:114], v[1:2], off offset:112640
	s_wait_loadcnt 0x0
	v_and_b32_e32 v114, 0x7fffffff, v114
.LBB16_119:
	s_wait_alu 0xfffe
	s_or_b32 exec_lo, exec_lo, s0
	v_or_b32_e32 v5, 0x3800, v0
                                        ; implicit-def: $vgpr115_vgpr116
	s_delay_alu instid0(VALU_DEP_1) | instskip(NEXT) | instid1(VALU_DEP_1)
	v_cmp_gt_u32_e64 s55, s22, v5
	s_and_saveexec_b32 s0, s55
	s_cbranch_execz .LBB16_121
; %bb.120:
	global_load_b64 v[115:116], v[1:2], off offset:114688
	s_wait_loadcnt 0x0
	v_and_b32_e32 v116, 0x7fffffff, v116
.LBB16_121:
	s_wait_alu 0xfffe
	s_or_b32 exec_lo, exec_lo, s0
	v_or_b32_e32 v5, 0x3900, v0
                                        ; implicit-def: $vgpr117_vgpr118
	s_delay_alu instid0(VALU_DEP_1) | instskip(NEXT) | instid1(VALU_DEP_1)
	v_cmp_gt_u32_e64 s56, s22, v5
	s_and_saveexec_b32 s0, s56
	s_cbranch_execz .LBB16_123
; %bb.122:
	global_load_b64 v[117:118], v[1:2], off offset:116736
	s_wait_loadcnt 0x0
	v_and_b32_e32 v118, 0x7fffffff, v118
.LBB16_123:
	s_wait_alu 0xfffe
	s_or_b32 exec_lo, exec_lo, s0
	v_or_b32_e32 v5, 0x3a00, v0
                                        ; implicit-def: $vgpr119_vgpr120
	s_delay_alu instid0(VALU_DEP_1) | instskip(NEXT) | instid1(VALU_DEP_1)
	v_cmp_gt_u32_e64 s57, s22, v5
	s_and_saveexec_b32 s0, s57
	s_cbranch_execz .LBB16_125
; %bb.124:
	global_load_b64 v[119:120], v[1:2], off offset:118784
	s_wait_loadcnt 0x0
	v_and_b32_e32 v120, 0x7fffffff, v120
.LBB16_125:
	s_wait_alu 0xfffe
	s_or_b32 exec_lo, exec_lo, s0
	v_or_b32_e32 v5, 0x3b00, v0
                                        ; implicit-def: $vgpr121_vgpr122
	s_delay_alu instid0(VALU_DEP_1) | instskip(NEXT) | instid1(VALU_DEP_1)
	v_cmp_gt_u32_e64 s58, s22, v5
	s_and_saveexec_b32 s0, s58
	s_cbranch_execz .LBB16_127
; %bb.126:
	global_load_b64 v[121:122], v[1:2], off offset:120832
	s_wait_loadcnt 0x0
	v_and_b32_e32 v122, 0x7fffffff, v122
.LBB16_127:
	s_wait_alu 0xfffe
	s_or_b32 exec_lo, exec_lo, s0
	v_or_b32_e32 v5, 0x3c00, v0
                                        ; implicit-def: $vgpr123_vgpr124
	s_delay_alu instid0(VALU_DEP_1) | instskip(NEXT) | instid1(VALU_DEP_1)
	v_cmp_gt_u32_e64 s59, s22, v5
	s_and_saveexec_b32 s0, s59
	s_cbranch_execz .LBB16_129
; %bb.128:
	global_load_b64 v[123:124], v[1:2], off offset:122880
	s_wait_loadcnt 0x0
	v_and_b32_e32 v124, 0x7fffffff, v124
.LBB16_129:
	s_wait_alu 0xfffe
	s_or_b32 exec_lo, exec_lo, s0
	v_or_b32_e32 v5, 0x3d00, v0
                                        ; implicit-def: $vgpr125_vgpr126
	s_delay_alu instid0(VALU_DEP_1) | instskip(NEXT) | instid1(VALU_DEP_1)
	v_cmp_gt_u32_e64 s60, s22, v5
	s_and_saveexec_b32 s0, s60
	s_cbranch_execz .LBB16_131
; %bb.130:
	global_load_b64 v[125:126], v[1:2], off offset:124928
	s_wait_loadcnt 0x0
	v_and_b32_e32 v126, 0x7fffffff, v126
.LBB16_131:
	s_wait_alu 0xfffe
	s_or_b32 exec_lo, exec_lo, s0
	v_or_b32_e32 v5, 0x3e00, v0
                                        ; implicit-def: $vgpr127_vgpr128
	s_delay_alu instid0(VALU_DEP_1) | instskip(NEXT) | instid1(VALU_DEP_1)
	v_cmp_gt_u32_e64 s61, s22, v5
	s_and_saveexec_b32 s0, s61
	s_cbranch_execz .LBB16_133
; %bb.132:
	global_load_b64 v[127:128], v[1:2], off offset:126976
	s_wait_loadcnt 0x0
	v_and_b32_e32 v128, 0x7fffffff, v128
.LBB16_133:
	s_wait_alu 0xfffe
	s_or_b32 exec_lo, exec_lo, s0
	v_or_b32_e32 v5, 0x3f00, v0
                                        ; implicit-def: $vgpr129_vgpr130
	s_delay_alu instid0(VALU_DEP_1) | instskip(NEXT) | instid1(VALU_DEP_1)
	v_cmp_gt_u32_e64 s62, s22, v5
	s_and_saveexec_b32 s0, s62
	s_cbranch_execz .LBB16_135
; %bb.134:
	global_load_b64 v[129:130], v[1:2], off offset:129024
	s_wait_loadcnt 0x0
	v_and_b32_e32 v130, 0x7fffffff, v130
.LBB16_135:
	s_wait_alu 0xfffe
	s_or_b32 exec_lo, exec_lo, s0
	v_or_b32_e32 v5, 0x4000, v0
                                        ; implicit-def: $vgpr131_vgpr132
	s_delay_alu instid0(VALU_DEP_1) | instskip(NEXT) | instid1(VALU_DEP_1)
	v_cmp_gt_u32_e64 s63, s22, v5
	s_and_saveexec_b32 s0, s63
	s_cbranch_execz .LBB16_137
; %bb.136:
	global_load_b64 v[131:132], v[1:2], off offset:131072
	s_wait_loadcnt 0x0
	v_and_b32_e32 v132, 0x7fffffff, v132
.LBB16_137:
	s_wait_alu 0xfffe
	s_or_b32 exec_lo, exec_lo, s0
	v_or_b32_e32 v5, 0x4100, v0
                                        ; implicit-def: $vgpr133_vgpr134
	s_delay_alu instid0(VALU_DEP_1) | instskip(NEXT) | instid1(VALU_DEP_1)
	v_cmp_gt_u32_e64 s64, s22, v5
	s_and_saveexec_b32 s0, s64
	s_cbranch_execz .LBB16_139
; %bb.138:
	global_load_b64 v[133:134], v[1:2], off offset:133120
	s_wait_loadcnt 0x0
	v_and_b32_e32 v134, 0x7fffffff, v134
.LBB16_139:
	s_wait_alu 0xfffe
	s_or_b32 exec_lo, exec_lo, s0
	v_or_b32_e32 v5, 0x4200, v0
                                        ; implicit-def: $vgpr135_vgpr136
	s_delay_alu instid0(VALU_DEP_1) | instskip(NEXT) | instid1(VALU_DEP_1)
	v_cmp_gt_u32_e64 s65, s22, v5
	s_and_saveexec_b32 s0, s65
	s_cbranch_execz .LBB16_141
; %bb.140:
	global_load_b64 v[135:136], v[1:2], off offset:135168
	s_wait_loadcnt 0x0
	v_and_b32_e32 v136, 0x7fffffff, v136
.LBB16_141:
	s_wait_alu 0xfffe
	s_or_b32 exec_lo, exec_lo, s0
	v_or_b32_e32 v5, 0x4300, v0
                                        ; implicit-def: $vgpr137_vgpr138
	s_delay_alu instid0(VALU_DEP_1) | instskip(NEXT) | instid1(VALU_DEP_1)
	v_cmp_gt_u32_e64 s66, s22, v5
	s_and_saveexec_b32 s0, s66
	s_cbranch_execz .LBB16_143
; %bb.142:
	global_load_b64 v[137:138], v[1:2], off offset:137216
	s_wait_loadcnt 0x0
	v_and_b32_e32 v138, 0x7fffffff, v138
.LBB16_143:
	s_wait_alu 0xfffe
	s_or_b32 exec_lo, exec_lo, s0
	v_or_b32_e32 v5, 0x4400, v0
                                        ; implicit-def: $vgpr139_vgpr140
	s_delay_alu instid0(VALU_DEP_1) | instskip(NEXT) | instid1(VALU_DEP_1)
	v_cmp_gt_u32_e64 s67, s22, v5
	s_and_saveexec_b32 s0, s67
	s_cbranch_execz .LBB16_145
; %bb.144:
	global_load_b64 v[139:140], v[1:2], off offset:139264
	s_wait_loadcnt 0x0
	v_and_b32_e32 v140, 0x7fffffff, v140
.LBB16_145:
	s_wait_alu 0xfffe
	s_or_b32 exec_lo, exec_lo, s0
	v_or_b32_e32 v5, 0x4500, v0
                                        ; implicit-def: $vgpr141_vgpr142
	s_delay_alu instid0(VALU_DEP_1) | instskip(NEXT) | instid1(VALU_DEP_1)
	v_cmp_gt_u32_e64 s68, s22, v5
	s_and_saveexec_b32 s0, s68
	s_cbranch_execz .LBB16_147
; %bb.146:
	global_load_b64 v[141:142], v[1:2], off offset:141312
	s_wait_loadcnt 0x0
	v_and_b32_e32 v142, 0x7fffffff, v142
.LBB16_147:
	s_wait_alu 0xfffe
	s_or_b32 exec_lo, exec_lo, s0
	v_or_b32_e32 v5, 0x4600, v0
                                        ; implicit-def: $vgpr143_vgpr144
	s_delay_alu instid0(VALU_DEP_1) | instskip(NEXT) | instid1(VALU_DEP_1)
	v_cmp_gt_u32_e64 s69, s22, v5
	s_and_saveexec_b32 s0, s69
	s_cbranch_execz .LBB16_149
; %bb.148:
	global_load_b64 v[143:144], v[1:2], off offset:143360
	s_wait_loadcnt 0x0
	v_and_b32_e32 v144, 0x7fffffff, v144
.LBB16_149:
	s_wait_alu 0xfffe
	s_or_b32 exec_lo, exec_lo, s0
	v_or_b32_e32 v5, 0x4700, v0
                                        ; implicit-def: $vgpr145_vgpr146
	s_delay_alu instid0(VALU_DEP_1) | instskip(NEXT) | instid1(VALU_DEP_1)
	v_cmp_gt_u32_e64 s70, s22, v5
	s_and_saveexec_b32 s0, s70
	s_cbranch_execz .LBB16_151
; %bb.150:
	global_load_b64 v[145:146], v[1:2], off offset:145408
	s_wait_loadcnt 0x0
	v_and_b32_e32 v146, 0x7fffffff, v146
.LBB16_151:
	s_wait_alu 0xfffe
	s_or_b32 exec_lo, exec_lo, s0
	v_or_b32_e32 v5, 0x4800, v0
                                        ; implicit-def: $vgpr147_vgpr148
	s_delay_alu instid0(VALU_DEP_1) | instskip(NEXT) | instid1(VALU_DEP_1)
	v_cmp_gt_u32_e64 s71, s22, v5
	s_and_saveexec_b32 s0, s71
	s_cbranch_execz .LBB16_153
; %bb.152:
	global_load_b64 v[147:148], v[1:2], off offset:147456
	s_wait_loadcnt 0x0
	v_and_b32_e32 v148, 0x7fffffff, v148
.LBB16_153:
	s_wait_alu 0xfffe
	s_or_b32 exec_lo, exec_lo, s0
	v_or_b32_e32 v5, 0x4900, v0
                                        ; implicit-def: $vgpr149_vgpr150
	s_delay_alu instid0(VALU_DEP_1) | instskip(NEXT) | instid1(VALU_DEP_1)
	v_cmp_gt_u32_e64 s72, s22, v5
	s_and_saveexec_b32 s0, s72
	s_cbranch_execz .LBB16_155
; %bb.154:
	global_load_b64 v[149:150], v[1:2], off offset:149504
	s_wait_loadcnt 0x0
	v_and_b32_e32 v150, 0x7fffffff, v150
.LBB16_155:
	s_wait_alu 0xfffe
	s_or_b32 exec_lo, exec_lo, s0
	v_or_b32_e32 v5, 0x4a00, v0
                                        ; implicit-def: $vgpr151_vgpr152
	s_delay_alu instid0(VALU_DEP_1) | instskip(NEXT) | instid1(VALU_DEP_1)
	v_cmp_gt_u32_e64 s73, s22, v5
	s_and_saveexec_b32 s0, s73
	s_cbranch_execz .LBB16_157
; %bb.156:
	global_load_b64 v[151:152], v[1:2], off offset:151552
	s_wait_loadcnt 0x0
	v_and_b32_e32 v152, 0x7fffffff, v152
.LBB16_157:
	s_wait_alu 0xfffe
	s_or_b32 exec_lo, exec_lo, s0
	v_or_b32_e32 v5, 0x4b00, v0
                                        ; implicit-def: $vgpr153_vgpr154
	s_delay_alu instid0(VALU_DEP_1) | instskip(NEXT) | instid1(VALU_DEP_1)
	v_cmp_gt_u32_e64 s74, s22, v5
	s_and_saveexec_b32 s0, s74
	s_cbranch_execz .LBB16_159
; %bb.158:
	global_load_b64 v[153:154], v[1:2], off offset:153600
	s_wait_loadcnt 0x0
	v_and_b32_e32 v154, 0x7fffffff, v154
.LBB16_159:
	s_wait_alu 0xfffe
	s_or_b32 exec_lo, exec_lo, s0
	v_or_b32_e32 v5, 0x4c00, v0
                                        ; implicit-def: $vgpr155_vgpr156
	s_delay_alu instid0(VALU_DEP_1) | instskip(NEXT) | instid1(VALU_DEP_1)
	v_cmp_gt_u32_e64 s75, s22, v5
	s_and_saveexec_b32 s0, s75
	s_cbranch_execz .LBB16_161
; %bb.160:
	global_load_b64 v[155:156], v[1:2], off offset:155648
	s_wait_loadcnt 0x0
	v_and_b32_e32 v156, 0x7fffffff, v156
.LBB16_161:
	s_wait_alu 0xfffe
	s_or_b32 exec_lo, exec_lo, s0
	v_or_b32_e32 v5, 0x4d00, v0
                                        ; implicit-def: $vgpr157_vgpr158
	s_delay_alu instid0(VALU_DEP_1) | instskip(NEXT) | instid1(VALU_DEP_1)
	v_cmp_gt_u32_e64 s76, s22, v5
	s_and_saveexec_b32 s0, s76
	s_cbranch_execz .LBB16_163
; %bb.162:
	global_load_b64 v[157:158], v[1:2], off offset:157696
	s_wait_loadcnt 0x0
	v_and_b32_e32 v158, 0x7fffffff, v158
.LBB16_163:
	s_wait_alu 0xfffe
	s_or_b32 exec_lo, exec_lo, s0
	v_or_b32_e32 v5, 0x4e00, v0
                                        ; implicit-def: $vgpr159_vgpr160
	s_delay_alu instid0(VALU_DEP_1) | instskip(NEXT) | instid1(VALU_DEP_1)
	v_cmp_gt_u32_e64 s77, s22, v5
	s_and_saveexec_b32 s0, s77
	s_cbranch_execz .LBB16_165
; %bb.164:
	global_load_b64 v[159:160], v[1:2], off offset:159744
	s_wait_loadcnt 0x0
	v_and_b32_e32 v160, 0x7fffffff, v160
.LBB16_165:
	s_wait_alu 0xfffe
	s_or_b32 exec_lo, exec_lo, s0
	v_or_b32_e32 v5, 0x4f00, v0
                                        ; implicit-def: $vgpr161_vgpr162
	s_delay_alu instid0(VALU_DEP_1) | instskip(NEXT) | instid1(VALU_DEP_1)
	v_cmp_gt_u32_e64 s78, s22, v5
	s_and_saveexec_b32 s0, s78
	s_cbranch_execz .LBB16_167
; %bb.166:
	global_load_b64 v[161:162], v[1:2], off offset:161792
	s_wait_loadcnt 0x0
	v_and_b32_e32 v162, 0x7fffffff, v162
.LBB16_167:
	s_wait_alu 0xfffe
	s_or_b32 exec_lo, exec_lo, s0
	v_or_b32_e32 v5, 0x5000, v0
                                        ; implicit-def: $vgpr163_vgpr164
	s_delay_alu instid0(VALU_DEP_1) | instskip(NEXT) | instid1(VALU_DEP_1)
	v_cmp_gt_u32_e64 s79, s22, v5
	s_and_saveexec_b32 s0, s79
	s_cbranch_execz .LBB16_169
; %bb.168:
	global_load_b64 v[163:164], v[1:2], off offset:163840
	s_wait_loadcnt 0x0
	v_and_b32_e32 v164, 0x7fffffff, v164
.LBB16_169:
	s_wait_alu 0xfffe
	s_or_b32 exec_lo, exec_lo, s0
	v_or_b32_e32 v5, 0x5100, v0
                                        ; implicit-def: $vgpr165_vgpr166
	s_delay_alu instid0(VALU_DEP_1) | instskip(NEXT) | instid1(VALU_DEP_1)
	v_cmp_gt_u32_e64 s80, s22, v5
	s_and_saveexec_b32 s0, s80
	s_cbranch_execz .LBB16_171
; %bb.170:
	global_load_b64 v[165:166], v[1:2], off offset:165888
	s_wait_loadcnt 0x0
	v_and_b32_e32 v166, 0x7fffffff, v166
.LBB16_171:
	s_wait_alu 0xfffe
	s_or_b32 exec_lo, exec_lo, s0
	v_or_b32_e32 v5, 0x5200, v0
                                        ; implicit-def: $vgpr167_vgpr168
	s_delay_alu instid0(VALU_DEP_1) | instskip(NEXT) | instid1(VALU_DEP_1)
	v_cmp_gt_u32_e64 s81, s22, v5
	s_and_saveexec_b32 s0, s81
	s_cbranch_execz .LBB16_173
; %bb.172:
	global_load_b64 v[167:168], v[1:2], off offset:167936
	s_wait_loadcnt 0x0
	v_and_b32_e32 v168, 0x7fffffff, v168
.LBB16_173:
	s_wait_alu 0xfffe
	s_or_b32 exec_lo, exec_lo, s0
	v_or_b32_e32 v5, 0x5300, v0
                                        ; implicit-def: $vgpr169_vgpr170
	s_delay_alu instid0(VALU_DEP_1) | instskip(NEXT) | instid1(VALU_DEP_1)
	v_cmp_gt_u32_e64 s82, s22, v5
	s_and_saveexec_b32 s0, s82
	s_cbranch_execz .LBB16_175
; %bb.174:
	global_load_b64 v[169:170], v[1:2], off offset:169984
	s_wait_loadcnt 0x0
	v_and_b32_e32 v170, 0x7fffffff, v170
.LBB16_175:
	s_wait_alu 0xfffe
	s_or_b32 exec_lo, exec_lo, s0
	v_or_b32_e32 v5, 0x5400, v0
                                        ; implicit-def: $vgpr171_vgpr172
	s_delay_alu instid0(VALU_DEP_1) | instskip(NEXT) | instid1(VALU_DEP_1)
	v_cmp_gt_u32_e64 s83, s22, v5
	s_and_saveexec_b32 s0, s83
	s_cbranch_execz .LBB16_177
; %bb.176:
	global_load_b64 v[171:172], v[1:2], off offset:172032
	s_wait_loadcnt 0x0
	v_and_b32_e32 v172, 0x7fffffff, v172
.LBB16_177:
	s_wait_alu 0xfffe
	s_or_b32 exec_lo, exec_lo, s0
	v_or_b32_e32 v5, 0x5500, v0
                                        ; implicit-def: $vgpr173_vgpr174
	s_delay_alu instid0(VALU_DEP_1) | instskip(NEXT) | instid1(VALU_DEP_1)
	v_cmp_gt_u32_e64 s84, s22, v5
	s_and_saveexec_b32 s0, s84
	s_cbranch_execz .LBB16_179
; %bb.178:
	global_load_b64 v[173:174], v[1:2], off offset:174080
	s_wait_loadcnt 0x0
	v_and_b32_e32 v174, 0x7fffffff, v174
.LBB16_179:
	s_wait_alu 0xfffe
	s_or_b32 exec_lo, exec_lo, s0
	v_or_b32_e32 v5, 0x5600, v0
                                        ; implicit-def: $vgpr175_vgpr176
	s_delay_alu instid0(VALU_DEP_1) | instskip(NEXT) | instid1(VALU_DEP_1)
	v_cmp_gt_u32_e64 s85, s22, v5
	s_and_saveexec_b32 s0, s85
	s_cbranch_execz .LBB16_181
; %bb.180:
	global_load_b64 v[175:176], v[1:2], off offset:176128
	s_wait_loadcnt 0x0
	v_and_b32_e32 v176, 0x7fffffff, v176
.LBB16_181:
	s_wait_alu 0xfffe
	s_or_b32 exec_lo, exec_lo, s0
	v_or_b32_e32 v5, 0x5700, v0
                                        ; implicit-def: $vgpr177_vgpr178
	s_delay_alu instid0(VALU_DEP_1) | instskip(NEXT) | instid1(VALU_DEP_1)
	v_cmp_gt_u32_e64 s86, s22, v5
	s_and_saveexec_b32 s0, s86
	s_cbranch_execz .LBB16_183
; %bb.182:
	global_load_b64 v[177:178], v[1:2], off offset:178176
	s_wait_loadcnt 0x0
	v_and_b32_e32 v178, 0x7fffffff, v178
.LBB16_183:
	s_wait_alu 0xfffe
	s_or_b32 exec_lo, exec_lo, s0
	v_or_b32_e32 v5, 0x5800, v0
                                        ; implicit-def: $vgpr179_vgpr180
	s_delay_alu instid0(VALU_DEP_1) | instskip(NEXT) | instid1(VALU_DEP_1)
	v_cmp_gt_u32_e64 s87, s22, v5
	s_and_saveexec_b32 s0, s87
	s_cbranch_execz .LBB16_185
; %bb.184:
	global_load_b64 v[179:180], v[1:2], off offset:180224
	s_wait_loadcnt 0x0
	v_and_b32_e32 v180, 0x7fffffff, v180
.LBB16_185:
	s_wait_alu 0xfffe
	s_or_b32 exec_lo, exec_lo, s0
	v_or_b32_e32 v5, 0x5900, v0
                                        ; implicit-def: $vgpr181_vgpr182
	s_delay_alu instid0(VALU_DEP_1) | instskip(NEXT) | instid1(VALU_DEP_1)
	v_cmp_gt_u32_e64 s88, s22, v5
	s_and_saveexec_b32 s0, s88
	s_cbranch_execz .LBB16_187
; %bb.186:
	global_load_b64 v[181:182], v[1:2], off offset:182272
	s_wait_loadcnt 0x0
	v_and_b32_e32 v182, 0x7fffffff, v182
.LBB16_187:
	s_wait_alu 0xfffe
	s_or_b32 exec_lo, exec_lo, s0
	v_or_b32_e32 v5, 0x5a00, v0
                                        ; implicit-def: $vgpr183_vgpr184
	s_delay_alu instid0(VALU_DEP_1) | instskip(NEXT) | instid1(VALU_DEP_1)
	v_cmp_gt_u32_e64 s89, s22, v5
	s_and_saveexec_b32 s0, s89
	s_cbranch_execz .LBB16_189
; %bb.188:
	global_load_b64 v[183:184], v[1:2], off offset:184320
	s_wait_loadcnt 0x0
	v_and_b32_e32 v184, 0x7fffffff, v184
.LBB16_189:
	s_wait_alu 0xfffe
	s_or_b32 exec_lo, exec_lo, s0
	v_or_b32_e32 v5, 0x5b00, v0
                                        ; implicit-def: $vgpr185_vgpr186
	s_delay_alu instid0(VALU_DEP_1) | instskip(NEXT) | instid1(VALU_DEP_1)
	v_cmp_gt_u32_e64 s90, s22, v5
	s_and_saveexec_b32 s0, s90
	s_cbranch_execz .LBB16_191
; %bb.190:
	global_load_b64 v[185:186], v[1:2], off offset:186368
	s_wait_loadcnt 0x0
	v_and_b32_e32 v186, 0x7fffffff, v186
.LBB16_191:
	s_wait_alu 0xfffe
	s_or_b32 exec_lo, exec_lo, s0
	v_or_b32_e32 v5, 0x5c00, v0
                                        ; implicit-def: $vgpr187_vgpr188
	s_delay_alu instid0(VALU_DEP_1) | instskip(NEXT) | instid1(VALU_DEP_1)
	v_cmp_gt_u32_e64 s91, s22, v5
	s_and_saveexec_b32 s0, s91
	s_cbranch_execz .LBB16_193
; %bb.192:
	global_load_b64 v[187:188], v[1:2], off offset:188416
	s_wait_loadcnt 0x0
	v_and_b32_e32 v188, 0x7fffffff, v188
.LBB16_193:
	s_wait_alu 0xfffe
	s_or_b32 exec_lo, exec_lo, s0
	v_or_b32_e32 v5, 0x5d00, v0
                                        ; implicit-def: $vgpr189_vgpr190
	s_delay_alu instid0(VALU_DEP_1) | instskip(NEXT) | instid1(VALU_DEP_1)
	v_cmp_gt_u32_e64 s92, s22, v5
	s_and_saveexec_b32 s0, s92
	s_cbranch_execz .LBB16_195
; %bb.194:
	global_load_b64 v[189:190], v[1:2], off offset:190464
	s_wait_loadcnt 0x0
	v_and_b32_e32 v190, 0x7fffffff, v190
.LBB16_195:
	s_wait_alu 0xfffe
	s_or_b32 exec_lo, exec_lo, s0
	v_or_b32_e32 v5, 0x5e00, v0
                                        ; implicit-def: $vgpr191_vgpr192
	s_delay_alu instid0(VALU_DEP_1) | instskip(NEXT) | instid1(VALU_DEP_1)
	v_cmp_gt_u32_e64 s93, s22, v5
	s_and_saveexec_b32 s0, s93
	s_cbranch_execz .LBB16_197
; %bb.196:
	global_load_b64 v[191:192], v[1:2], off offset:192512
	s_wait_loadcnt 0x0
	v_and_b32_e32 v192, 0x7fffffff, v192
.LBB16_197:
	s_wait_alu 0xfffe
	s_or_b32 exec_lo, exec_lo, s0
	v_or_b32_e32 v5, 0x5f00, v0
                                        ; implicit-def: $vgpr193_vgpr194
	s_delay_alu instid0(VALU_DEP_1) | instskip(NEXT) | instid1(VALU_DEP_1)
	v_cmp_gt_u32_e64 s94, s22, v5
	s_and_saveexec_b32 s0, s94
	s_cbranch_execz .LBB16_199
; %bb.198:
	global_load_b64 v[193:194], v[1:2], off offset:194560
	s_wait_loadcnt 0x0
	v_and_b32_e32 v194, 0x7fffffff, v194
.LBB16_199:
	s_wait_alu 0xfffe
	s_or_b32 exec_lo, exec_lo, s0
	v_or_b32_e32 v5, 0x6000, v0
                                        ; implicit-def: $vgpr195_vgpr196
	s_delay_alu instid0(VALU_DEP_1) | instskip(NEXT) | instid1(VALU_DEP_1)
	v_cmp_gt_u32_e64 s95, s22, v5
	s_and_saveexec_b32 s0, s95
	s_cbranch_execz .LBB16_201
; %bb.200:
	global_load_b64 v[195:196], v[1:2], off offset:196608
	s_wait_loadcnt 0x0
	v_and_b32_e32 v196, 0x7fffffff, v196
.LBB16_201:
	s_wait_alu 0xfffe
	s_or_b32 exec_lo, exec_lo, s0
	v_or_b32_e32 v5, 0x6100, v0
                                        ; implicit-def: $vgpr197_vgpr198
	s_delay_alu instid0(VALU_DEP_1) | instskip(NEXT) | instid1(VALU_DEP_1)
	v_cmp_gt_u32_e64 s96, s22, v5
	s_and_saveexec_b32 s0, s96
	s_cbranch_execz .LBB16_203
; %bb.202:
	global_load_b64 v[197:198], v[1:2], off offset:198656
	s_wait_loadcnt 0x0
	v_and_b32_e32 v198, 0x7fffffff, v198
.LBB16_203:
	s_wait_alu 0xfffe
	s_or_b32 exec_lo, exec_lo, s0
	v_or_b32_e32 v5, 0x6200, v0
                                        ; implicit-def: $vgpr199_vgpr200
	s_delay_alu instid0(VALU_DEP_1) | instskip(NEXT) | instid1(VALU_DEP_1)
	v_cmp_gt_u32_e64 s97, s22, v5
	s_and_saveexec_b32 s0, s97
	s_cbranch_execz .LBB16_205
; %bb.204:
	global_load_b64 v[199:200], v[1:2], off offset:200704
	s_wait_loadcnt 0x0
	v_and_b32_e32 v200, 0x7fffffff, v200
.LBB16_205:
	s_wait_alu 0xfffe
	s_or_b32 exec_lo, exec_lo, s0
	v_or_b32_e32 v5, 0x6300, v0
                                        ; implicit-def: $vgpr201_vgpr202
	s_delay_alu instid0(VALU_DEP_1) | instskip(NEXT) | instid1(VALU_DEP_1)
	v_cmp_gt_u32_e64 s98, s22, v5
	s_and_saveexec_b32 s0, s98
	s_cbranch_execz .LBB16_207
; %bb.206:
	global_load_b64 v[201:202], v[1:2], off offset:202752
	s_wait_loadcnt 0x0
	v_and_b32_e32 v202, 0x7fffffff, v202
.LBB16_207:
	s_wait_alu 0xfffe
	s_or_b32 exec_lo, exec_lo, s0
	v_or_b32_e32 v5, 0x6400, v0
                                        ; implicit-def: $vgpr203_vgpr204
	s_delay_alu instid0(VALU_DEP_1) | instskip(NEXT) | instid1(VALU_DEP_1)
	v_cmp_gt_u32_e64 s99, s22, v5
	s_and_saveexec_b32 s0, s99
	s_cbranch_execz .LBB16_209
; %bb.208:
	global_load_b64 v[203:204], v[1:2], off offset:204800
	s_wait_loadcnt 0x0
	v_and_b32_e32 v204, 0x7fffffff, v204
.LBB16_209:
	s_wait_alu 0xfffe
	s_or_b32 exec_lo, exec_lo, s0
	v_or_b32_e32 v5, 0x6500, v0
                                        ; implicit-def: $vgpr205_vgpr206
	s_delay_alu instid0(VALU_DEP_1) | instskip(NEXT) | instid1(VALU_DEP_1)
	v_cmp_gt_u32_e64 s100, s22, v5
	s_and_saveexec_b32 s0, s100
	s_cbranch_execz .LBB16_211
; %bb.210:
	global_load_b64 v[205:206], v[1:2], off offset:206848
	s_wait_loadcnt 0x0
	v_and_b32_e32 v206, 0x7fffffff, v206
.LBB16_211:
	s_wait_alu 0xfffe
	s_or_b32 exec_lo, exec_lo, s0
	v_or_b32_e32 v5, 0x6600, v0
                                        ; implicit-def: $vgpr207_vgpr208
	s_delay_alu instid0(VALU_DEP_1) | instskip(NEXT) | instid1(VALU_DEP_1)
	v_cmp_gt_u32_e64 s101, s22, v5
	s_and_saveexec_b32 s0, s101
	s_cbranch_execz .LBB16_213
; %bb.212:
	global_load_b64 v[207:208], v[1:2], off offset:208896
	s_wait_loadcnt 0x0
	v_and_b32_e32 v208, 0x7fffffff, v208
.LBB16_213:
	s_wait_alu 0xfffe
	s_or_b32 exec_lo, exec_lo, s0
	v_or_b32_e32 v5, 0x6700, v0
                                        ; implicit-def: $vgpr209_vgpr210
	s_delay_alu instid0(VALU_DEP_1) | instskip(NEXT) | instid1(VALU_DEP_1)
	v_cmp_gt_u32_e64 s102, s22, v5
	s_and_saveexec_b32 s0, s102
	s_cbranch_execz .LBB16_215
; %bb.214:
	global_load_b64 v[209:210], v[1:2], off offset:210944
	s_wait_loadcnt 0x0
	v_and_b32_e32 v210, 0x7fffffff, v210
.LBB16_215:
	s_wait_alu 0xfffe
	s_or_b32 exec_lo, exec_lo, s0
	v_or_b32_e32 v5, 0x6800, v0
                                        ; implicit-def: $vgpr211_vgpr212
	s_delay_alu instid0(VALU_DEP_1) | instskip(NEXT) | instid1(VALU_DEP_1)
	v_cmp_gt_u32_e64 s103, s22, v5
	s_and_saveexec_b32 s0, s103
	s_cbranch_execz .LBB16_217
; %bb.216:
	global_load_b64 v[211:212], v[1:2], off offset:212992
	s_wait_loadcnt 0x0
	v_and_b32_e32 v212, 0x7fffffff, v212
.LBB16_217:
	s_wait_alu 0xfffe
	s_or_b32 exec_lo, exec_lo, s0
	v_or_b32_e32 v5, 0x6900, v0
                                        ; implicit-def: $vgpr213_vgpr214
	s_delay_alu instid0(VALU_DEP_1) | instskip(NEXT) | instid1(VALU_DEP_1)
	v_cmp_gt_u32_e64 s104, s22, v5
	s_and_saveexec_b32 s0, s104
	s_cbranch_execz .LBB16_219
; %bb.218:
	global_load_b64 v[213:214], v[1:2], off offset:215040
	s_wait_loadcnt 0x0
	v_and_b32_e32 v214, 0x7fffffff, v214
.LBB16_219:
	s_wait_alu 0xfffe
	s_or_b32 exec_lo, exec_lo, s0
	v_or_b32_e32 v5, 0x6a00, v0
                                        ; implicit-def: $vgpr215_vgpr216
	s_delay_alu instid0(VALU_DEP_1) | instskip(NEXT) | instid1(VALU_DEP_1)
	v_cmp_gt_u32_e64 vcc_hi, s22, v5
	s_and_saveexec_b32 s0, vcc_hi
	s_cbranch_execz .LBB16_221
; %bb.220:
	global_load_b64 v[215:216], v[1:2], off offset:217088
	s_wait_loadcnt 0x0
	v_and_b32_e32 v216, 0x7fffffff, v216
.LBB16_221:
	s_wait_alu 0xfffe
	s_or_b32 exec_lo, exec_lo, s0
	v_or_b32_e32 v5, 0x6b00, v0
                                        ; implicit-def: $vgpr217_vgpr218
	s_delay_alu instid0(VALU_DEP_1) | instskip(NEXT) | instid1(VALU_DEP_1)
	v_cmp_gt_u32_e64 s0, s22, v5
	s_and_saveexec_b32 s1, s0
	s_cbranch_execz .LBB16_223
; %bb.222:
	global_load_b64 v[217:218], v[1:2], off offset:219136
	s_wait_loadcnt 0x0
	v_and_b32_e32 v218, 0x7fffffff, v218
.LBB16_223:
	s_wait_alu 0xfffe
	s_or_b32 exec_lo, exec_lo, s1
	v_or_b32_e32 v5, 0x6c00, v0
                                        ; implicit-def: $vgpr219_vgpr220
	s_delay_alu instid0(VALU_DEP_1) | instskip(NEXT) | instid1(VALU_DEP_1)
	v_cmp_gt_u32_e64 s1, s22, v5
	s_and_saveexec_b32 s2, s1
	s_cbranch_execz .LBB16_225
; %bb.224:
	global_load_b64 v[219:220], v[1:2], off offset:221184
	s_wait_loadcnt 0x0
	v_and_b32_e32 v220, 0x7fffffff, v220
.LBB16_225:
	s_wait_alu 0xfffe
	s_or_b32 exec_lo, exec_lo, s2
	v_or_b32_e32 v5, 0x6d00, v0
                                        ; implicit-def: $vgpr221_vgpr222
	s_delay_alu instid0(VALU_DEP_1) | instskip(NEXT) | instid1(VALU_DEP_1)
	v_cmp_gt_u32_e64 s2, s22, v5
	s_and_saveexec_b32 s3, s2
	s_cbranch_execz .LBB16_227
; %bb.226:
	global_load_b64 v[221:222], v[1:2], off offset:223232
	s_wait_loadcnt 0x0
	v_and_b32_e32 v222, 0x7fffffff, v222
.LBB16_227:
	s_wait_alu 0xfffe
	s_or_b32 exec_lo, exec_lo, s3
	v_or_b32_e32 v5, 0x6e00, v0
                                        ; implicit-def: $vgpr223_vgpr224
	s_delay_alu instid0(VALU_DEP_1) | instskip(NEXT) | instid1(VALU_DEP_1)
	v_cmp_gt_u32_e64 s3, s22, v5
	s_and_saveexec_b32 s4, s3
	s_cbranch_execz .LBB16_229
; %bb.228:
	global_load_b64 v[223:224], v[1:2], off offset:225280
	s_wait_loadcnt 0x0
	v_and_b32_e32 v224, 0x7fffffff, v224
.LBB16_229:
	s_or_b32 exec_lo, exec_lo, s4
	v_or_b32_e32 v5, 0x6f00, v0
                                        ; implicit-def: $vgpr225_vgpr226
	s_delay_alu instid0(VALU_DEP_1) | instskip(NEXT) | instid1(VALU_DEP_1)
	v_cmp_gt_u32_e64 s4, s22, v5
	s_and_saveexec_b32 s5, s4
	s_cbranch_execz .LBB16_231
; %bb.230:
	global_load_b64 v[225:226], v[1:2], off offset:227328
	s_wait_loadcnt 0x0
	v_and_b32_e32 v226, 0x7fffffff, v226
.LBB16_231:
	s_or_b32 exec_lo, exec_lo, s5
	v_or_b32_e32 v5, 0x7000, v0
                                        ; implicit-def: $vgpr227_vgpr228
	s_delay_alu instid0(VALU_DEP_1) | instskip(NEXT) | instid1(VALU_DEP_1)
	v_cmp_gt_u32_e64 s5, s22, v5
	s_and_saveexec_b32 s6, s5
	s_cbranch_execz .LBB16_233
; %bb.232:
	global_load_b64 v[227:228], v[1:2], off offset:229376
	s_wait_loadcnt 0x0
	v_and_b32_e32 v228, 0x7fffffff, v228
.LBB16_233:
	s_or_b32 exec_lo, exec_lo, s6
	v_or_b32_e32 v5, 0x7100, v0
                                        ; implicit-def: $vgpr229_vgpr230
	s_delay_alu instid0(VALU_DEP_1) | instskip(NEXT) | instid1(VALU_DEP_1)
	v_cmp_gt_u32_e64 s6, s22, v5
	s_and_saveexec_b32 s7, s6
	s_cbranch_execz .LBB16_235
; %bb.234:
	global_load_b64 v[229:230], v[1:2], off offset:231424
	s_wait_loadcnt 0x0
	v_and_b32_e32 v230, 0x7fffffff, v230
.LBB16_235:
	s_or_b32 exec_lo, exec_lo, s7
	v_or_b32_e32 v5, 0x7200, v0
                                        ; implicit-def: $vgpr231_vgpr232
	s_delay_alu instid0(VALU_DEP_1) | instskip(NEXT) | instid1(VALU_DEP_1)
	v_cmp_gt_u32_e64 s7, s22, v5
	s_and_saveexec_b32 s8, s7
	s_cbranch_execz .LBB16_237
; %bb.236:
	global_load_b64 v[231:232], v[1:2], off offset:233472
	s_wait_loadcnt 0x0
	v_and_b32_e32 v232, 0x7fffffff, v232
.LBB16_237:
	s_wait_alu 0xfffe
	s_or_b32 exec_lo, exec_lo, s8
	v_or_b32_e32 v5, 0x7300, v0
                                        ; implicit-def: $vgpr233_vgpr234
	s_delay_alu instid0(VALU_DEP_1) | instskip(NEXT) | instid1(VALU_DEP_1)
	v_cmp_gt_u32_e64 s8, s22, v5
	s_and_saveexec_b32 s9, s8
	s_cbranch_execz .LBB16_239
; %bb.238:
	global_load_b64 v[233:234], v[1:2], off offset:235520
	s_wait_loadcnt 0x0
	v_and_b32_e32 v234, 0x7fffffff, v234
.LBB16_239:
	s_wait_alu 0xfffe
	s_or_b32 exec_lo, exec_lo, s9
	v_or_b32_e32 v5, 0x7400, v0
                                        ; implicit-def: $vgpr235_vgpr236
	s_delay_alu instid0(VALU_DEP_1) | instskip(NEXT) | instid1(VALU_DEP_1)
	v_cmp_gt_u32_e64 s9, s22, v5
	s_and_saveexec_b32 s10, s9
	s_cbranch_execz .LBB16_241
; %bb.240:
	global_load_b64 v[235:236], v[1:2], off offset:237568
	s_wait_loadcnt 0x0
	v_and_b32_e32 v236, 0x7fffffff, v236
.LBB16_241:
	s_wait_alu 0xfffe
	s_or_b32 exec_lo, exec_lo, s10
	v_or_b32_e32 v5, 0x7500, v0
                                        ; implicit-def: $vgpr237_vgpr238
	s_delay_alu instid0(VALU_DEP_1) | instskip(NEXT) | instid1(VALU_DEP_1)
	v_cmp_gt_u32_e64 s10, s22, v5
	s_and_saveexec_b32 s11, s10
	s_cbranch_execz .LBB16_243
; %bb.242:
	global_load_b64 v[237:238], v[1:2], off offset:239616
	s_wait_loadcnt 0x0
	v_and_b32_e32 v238, 0x7fffffff, v238
.LBB16_243:
	s_wait_alu 0xfffe
	s_or_b32 exec_lo, exec_lo, s11
	v_or_b32_e32 v5, 0x7600, v0
                                        ; implicit-def: $vgpr239_vgpr240
	s_delay_alu instid0(VALU_DEP_1) | instskip(NEXT) | instid1(VALU_DEP_1)
	v_cmp_gt_u32_e64 s11, s22, v5
	s_and_saveexec_b32 s12, s11
	s_cbranch_execz .LBB16_245
; %bb.244:
	global_load_b64 v[239:240], v[1:2], off offset:241664
	s_wait_loadcnt 0x0
	v_and_b32_e32 v240, 0x7fffffff, v240
.LBB16_245:
	s_or_b32 exec_lo, exec_lo, s12
	v_or_b32_e32 v5, 0x7700, v0
                                        ; implicit-def: $vgpr241_vgpr242
	s_delay_alu instid0(VALU_DEP_1) | instskip(NEXT) | instid1(VALU_DEP_1)
	v_cmp_gt_u32_e64 s12, s22, v5
	s_and_saveexec_b32 s13, s12
	s_cbranch_execz .LBB16_247
; %bb.246:
	global_load_b64 v[241:242], v[1:2], off offset:243712
	s_wait_loadcnt 0x0
	v_and_b32_e32 v242, 0x7fffffff, v242
.LBB16_247:
	s_or_b32 exec_lo, exec_lo, s13
	v_or_b32_e32 v5, 0x7800, v0
                                        ; implicit-def: $vgpr243_vgpr244
	s_delay_alu instid0(VALU_DEP_1) | instskip(NEXT) | instid1(VALU_DEP_1)
	v_cmp_gt_u32_e64 s13, s22, v5
	s_and_saveexec_b32 s14, s13
	s_cbranch_execz .LBB16_249
; %bb.248:
	global_load_b64 v[243:244], v[1:2], off offset:245760
	s_wait_loadcnt 0x0
	v_and_b32_e32 v244, 0x7fffffff, v244
.LBB16_249:
	s_or_b32 exec_lo, exec_lo, s14
	v_or_b32_e32 v5, 0x7900, v0
                                        ; implicit-def: $vgpr245_vgpr246
	s_delay_alu instid0(VALU_DEP_1) | instskip(NEXT) | instid1(VALU_DEP_1)
	v_cmp_gt_u32_e64 s14, s22, v5
	s_and_saveexec_b32 s15, s14
	s_cbranch_execz .LBB16_251
; %bb.250:
	global_load_b64 v[245:246], v[1:2], off offset:247808
	s_wait_loadcnt 0x0
	v_and_b32_e32 v246, 0x7fffffff, v246
.LBB16_251:
	s_or_b32 exec_lo, exec_lo, s15
	v_or_b32_e32 v5, 0x7a00, v0
                                        ; implicit-def: $vgpr247_vgpr248
	s_delay_alu instid0(VALU_DEP_1) | instskip(NEXT) | instid1(VALU_DEP_1)
	v_cmp_gt_u32_e64 s15, s22, v5
	s_and_saveexec_b32 s16, s15
	s_cbranch_execz .LBB16_253
; %bb.252:
	global_load_b64 v[247:248], v[1:2], off offset:249856
	s_wait_loadcnt 0x0
	v_and_b32_e32 v248, 0x7fffffff, v248
.LBB16_253:
	s_or_b32 exec_lo, exec_lo, s16
	v_or_b32_e32 v5, 0x7b00, v0
                                        ; implicit-def: $vgpr249_vgpr250
	s_delay_alu instid0(VALU_DEP_1) | instskip(NEXT) | instid1(VALU_DEP_1)
	v_cmp_gt_u32_e64 s16, s22, v5
	s_and_saveexec_b32 s17, s16
	s_cbranch_execz .LBB16_255
; %bb.254:
	global_load_b64 v[249:250], v[1:2], off offset:251904
	s_wait_loadcnt 0x0
	v_and_b32_e32 v250, 0x7fffffff, v250
.LBB16_255:
	s_or_b32 exec_lo, exec_lo, s17
	v_or_b32_e32 v5, 0x7c00, v0
                                        ; implicit-def: $vgpr251_vgpr252
	s_delay_alu instid0(VALU_DEP_1) | instskip(NEXT) | instid1(VALU_DEP_1)
	v_cmp_gt_u32_e64 s17, s22, v5
	s_and_saveexec_b32 s18, s17
	s_cbranch_execz .LBB16_257
; %bb.256:
	global_load_b64 v[251:252], v[1:2], off offset:253952
	s_wait_loadcnt 0x0
	v_and_b32_e32 v252, 0x7fffffff, v252
.LBB16_257:
	s_or_b32 exec_lo, exec_lo, s18
	v_or_b32_e32 v5, 0x7d00, v0
                                        ; implicit-def: $vgpr253_vgpr254
	s_delay_alu instid0(VALU_DEP_1) | instskip(NEXT) | instid1(VALU_DEP_1)
	v_cmp_gt_u32_e64 s18, s22, v5
	s_and_saveexec_b32 s19, s18
	s_cbranch_execz .LBB16_259
; %bb.258:
	global_load_b64 v[253:254], v[1:2], off offset:256000
	s_wait_loadcnt 0x0
	v_and_b32_e32 v254, 0x7fffffff, v254
.LBB16_259:
	s_or_b32 exec_lo, exec_lo, s19
	v_or_b32_e32 v5, 0x7e00, v0
	s_delay_alu instid0(VALU_DEP_1) | instskip(NEXT) | instid1(VALU_DEP_1)
	v_cmp_gt_u32_e64 s19, s22, v5
                                        ; implicit-def: $vgpr5_vgpr6
	s_and_saveexec_b32 vcc_lo, s19
	s_cbranch_execz .LBB16_261
; %bb.260:
	global_load_b64 v[5:6], v[1:2], off offset:258048
	s_wait_loadcnt 0x0
	v_and_b32_e32 v6, 0x7fffffff, v6
.LBB16_261:
	s_or_b32 exec_lo, exec_lo, vcc_lo
	v_or_b32_e32 v7, 0x7f00, v0
	s_delay_alu instid0(VALU_DEP_1)
	v_cmp_gt_u32_e32 vcc_lo, s22, v7
                                        ; implicit-def: $vgpr7_vgpr8
	s_and_saveexec_b32 s23, vcc_lo
	s_cbranch_execz .LBB16_263
; %bb.262:
	global_load_b64 v[7:8], v[1:2], off offset:260096
	s_wait_loadcnt 0x0
	v_and_b32_e32 v8, 0x7fffffff, v8
.LBB16_263:
	s_wait_alu 0xfffe
	s_or_b32 exec_lo, exec_lo, s23
	scratch_load_b64 v[1:2], off, off th:TH_LOAD_LU ; 8-byte Folded Reload
	v_readlane_b32 s23, v255, 6
	s_wait_loadcnt 0x0
	v_add_f64_e32 v[1:2], v[3:4], v[1:2]
	s_wait_alu 0xf1ff
	s_delay_alu instid0(VALU_DEP_1) | instskip(NEXT) | instid1(VALU_DEP_2)
	v_cndmask_b32_e64 v2, v4, v2, s23
	v_cndmask_b32_e64 v1, v3, v1, s23
	scratch_load_b64 v[3:4], off, off offset:8 th:TH_LOAD_LU ; 8-byte Folded Reload
	v_readlane_b32 s23, v255, 7
	s_wait_loadcnt 0x0
	v_add_f64_e32 v[3:4], v[1:2], v[3:4]
	s_wait_alu 0xf1ff
	s_delay_alu instid0(VALU_DEP_1) | instskip(NEXT) | instid1(VALU_DEP_2)
	v_cndmask_b32_e64 v2, v2, v4, s23
	v_cndmask_b32_e64 v1, v1, v3, s23
	scratch_load_b64 v[3:4], off, off offset:16 th:TH_LOAD_LU ; 8-byte Folded Reload
	v_readlane_b32 s23, v255, 8
	s_wait_loadcnt 0x0
	v_add_f64_e32 v[3:4], v[1:2], v[3:4]
	s_wait_alu 0xf1ff
	s_delay_alu instid0(VALU_DEP_1) | instskip(NEXT) | instid1(VALU_DEP_2)
	v_cndmask_b32_e64 v2, v2, v4, s23
	v_cndmask_b32_e64 v1, v1, v3, s23
	v_readlane_b32 s23, v255, 9
	s_delay_alu instid0(VALU_DEP_2) | instskip(SKIP_1) | instid1(VALU_DEP_1)
	v_add_f64_e32 v[3:4], v[1:2], v[11:12]
	s_wait_alu 0xf1ff
	v_cndmask_b32_e64 v2, v2, v4, s23
	s_delay_alu instid0(VALU_DEP_2) | instskip(SKIP_1) | instid1(VALU_DEP_2)
	v_cndmask_b32_e64 v1, v1, v3, s23
	v_readlane_b32 s23, v255, 10
	v_add_f64_e32 v[3:4], v[1:2], v[13:14]
	s_wait_alu 0xf1ff
	s_delay_alu instid0(VALU_DEP_1) | instskip(NEXT) | instid1(VALU_DEP_2)
	v_cndmask_b32_e64 v2, v2, v4, s23
	v_cndmask_b32_e64 v1, v1, v3, s23
	v_readlane_b32 s23, v255, 11
	s_delay_alu instid0(VALU_DEP_2) | instskip(SKIP_1) | instid1(VALU_DEP_1)
	v_add_f64_e32 v[3:4], v[1:2], v[15:16]
	s_wait_alu 0xf1ff
	v_cndmask_b32_e64 v2, v2, v4, s23
	s_delay_alu instid0(VALU_DEP_2) | instskip(SKIP_1) | instid1(VALU_DEP_2)
	v_cndmask_b32_e64 v1, v1, v3, s23
	v_readlane_b32 s23, v255, 12
	;; [unrolled: 13-line block ×11, first 2 shown]
	v_add_f64_e32 v[3:4], v[1:2], v[53:54]
	s_wait_alu 0xf1ff
	s_delay_alu instid0(VALU_DEP_1) | instskip(NEXT) | instid1(VALU_DEP_2)
	v_cndmask_b32_e64 v2, v2, v4, s23
	v_cndmask_b32_e64 v1, v1, v3, s23
	v_readlane_b32 s23, v255, 31
	s_delay_alu instid0(VALU_DEP_2) | instskip(SKIP_1) | instid1(VALU_DEP_1)
	v_add_f64_e32 v[3:4], v[1:2], v[55:56]
	s_wait_alu 0xf1ff
	v_cndmask_b32_e64 v2, v2, v4, s23
	s_delay_alu instid0(VALU_DEP_2) | instskip(NEXT) | instid1(VALU_DEP_1)
	v_cndmask_b32_e64 v1, v1, v3, s23
	v_add_f64_e32 v[3:4], v[1:2], v[57:58]
	s_delay_alu instid0(VALU_DEP_1) | instskip(NEXT) | instid1(VALU_DEP_2)
	v_cndmask_b32_e64 v2, v2, v4, s25
	v_cndmask_b32_e64 v1, v1, v3, s25
	s_delay_alu instid0(VALU_DEP_1) | instskip(NEXT) | instid1(VALU_DEP_1)
	v_add_f64_e32 v[3:4], v[1:2], v[59:60]
	v_cndmask_b32_e64 v2, v2, v4, s26
	s_delay_alu instid0(VALU_DEP_2) | instskip(NEXT) | instid1(VALU_DEP_1)
	v_cndmask_b32_e64 v1, v1, v3, s26
	v_add_f64_e32 v[3:4], v[1:2], v[61:62]
	s_delay_alu instid0(VALU_DEP_1) | instskip(NEXT) | instid1(VALU_DEP_2)
	v_cndmask_b32_e64 v2, v2, v4, s27
	v_cndmask_b32_e64 v1, v1, v3, s27
	s_delay_alu instid0(VALU_DEP_1) | instskip(NEXT) | instid1(VALU_DEP_1)
	v_add_f64_e32 v[3:4], v[1:2], v[63:64]
	;; [unrolled: 9-line block ×40, first 2 shown]
	v_cndmask_b32_e64 v2, v2, v4, vcc_hi
	s_delay_alu instid0(VALU_DEP_2) | instskip(NEXT) | instid1(VALU_DEP_1)
	v_cndmask_b32_e64 v1, v1, v3, vcc_hi
	v_add_f64_e32 v[3:4], v[1:2], v[217:218]
	s_delay_alu instid0(VALU_DEP_1) | instskip(NEXT) | instid1(VALU_DEP_2)
	v_cndmask_b32_e64 v2, v2, v4, s0
	v_cndmask_b32_e64 v1, v1, v3, s0
	v_cmp_ne_u32_e64 s0, 31, v9
	s_delay_alu instid0(VALU_DEP_2) | instskip(NEXT) | instid1(VALU_DEP_1)
	v_add_f64_e32 v[3:4], v[1:2], v[219:220]
	v_cndmask_b32_e64 v2, v2, v4, s1
	s_delay_alu instid0(VALU_DEP_2) | instskip(SKIP_1) | instid1(VALU_DEP_1)
	v_cndmask_b32_e64 v1, v1, v3, s1
	s_mov_b32 s1, exec_lo
	v_add_f64_e32 v[3:4], v[1:2], v[221:222]
	s_delay_alu instid0(VALU_DEP_1) | instskip(NEXT) | instid1(VALU_DEP_2)
	v_cndmask_b32_e64 v2, v2, v4, s2
	v_cndmask_b32_e64 v1, v1, v3, s2
	s_delay_alu instid0(VALU_DEP_1) | instskip(NEXT) | instid1(VALU_DEP_1)
	v_add_f64_e32 v[3:4], v[1:2], v[223:224]
	v_cndmask_b32_e64 v2, v2, v4, s3
	s_delay_alu instid0(VALU_DEP_2) | instskip(NEXT) | instid1(VALU_DEP_1)
	v_cndmask_b32_e64 v1, v1, v3, s3
	v_add_f64_e32 v[3:4], v[1:2], v[225:226]
	s_delay_alu instid0(VALU_DEP_1) | instskip(NEXT) | instid1(VALU_DEP_2)
	v_cndmask_b32_e64 v2, v2, v4, s4
	v_cndmask_b32_e64 v1, v1, v3, s4
	s_delay_alu instid0(VALU_DEP_1) | instskip(NEXT) | instid1(VALU_DEP_1)
	v_add_f64_e32 v[3:4], v[1:2], v[227:228]
	v_cndmask_b32_e64 v2, v2, v4, s5
	s_delay_alu instid0(VALU_DEP_2) | instskip(NEXT) | instid1(VALU_DEP_1)
	v_cndmask_b32_e64 v1, v1, v3, s5
	;; [unrolled: 9-line block ×8, first 2 shown]
	v_add_f64_e32 v[3:4], v[1:2], v[253:254]
	s_delay_alu instid0(VALU_DEP_1) | instskip(NEXT) | instid1(VALU_DEP_2)
	v_cndmask_b32_e64 v2, v2, v4, s18
	v_cndmask_b32_e64 v1, v1, v3, s18
	s_delay_alu instid0(VALU_DEP_1) | instskip(SKIP_4) | instid1(VALU_DEP_3)
	v_add_f64_e32 v[3:4], v[1:2], v[5:6]
	s_wait_alu 0xf1ff
	v_add_co_ci_u32_e64 v5, s0, 0, v9, s0
	v_add_nc_u32_e32 v6, 1, v9
	s_min_u32 s0, s22, 0x100
	v_cndmask_b32_e64 v2, v2, v4, s19
	s_delay_alu instid0(VALU_DEP_4) | instskip(NEXT) | instid1(VALU_DEP_1)
	v_cndmask_b32_e64 v1, v1, v3, s19
	v_add_f64_e32 v[3:4], v[1:2], v[7:8]
	s_delay_alu instid0(VALU_DEP_1) | instskip(NEXT) | instid1(VALU_DEP_2)
	v_dual_cndmask_b32 v4, v2, v4 :: v_dual_lshlrev_b32 v5, 2, v5
	v_cndmask_b32_e32 v3, v1, v3, vcc_lo
	ds_bpermute_b32 v2, v5, v4
	ds_bpermute_b32 v1, v5, v3
	v_and_b32_e32 v5, 0xe0, v0
	s_wait_alu 0xfffe
	s_delay_alu instid0(VALU_DEP_1) | instskip(NEXT) | instid1(VALU_DEP_1)
	v_sub_nc_u32_e64 v5, s0, v5 clamp
	v_cmpx_lt_u32_e64 v6, v5
	s_cbranch_execz .LBB16_265
; %bb.264:
	s_wait_dscnt 0x0
	v_add_f64_e32 v[3:4], v[3:4], v[1:2]
.LBB16_265:
	s_or_b32 exec_lo, exec_lo, s1
	v_cmp_gt_u32_e32 vcc_lo, 30, v9
	v_add_nc_u32_e32 v6, 2, v9
	s_mov_b32 s1, exec_lo
	s_wait_dscnt 0x0
	s_wait_alu 0xfffd
	v_cndmask_b32_e64 v1, 0, 1, vcc_lo
	s_delay_alu instid0(VALU_DEP_1) | instskip(NEXT) | instid1(VALU_DEP_1)
	v_lshlrev_b32_e32 v1, 1, v1
	v_add_lshl_u32 v2, v1, v9, 2
	ds_bpermute_b32 v1, v2, v3
	ds_bpermute_b32 v2, v2, v4
	v_cmpx_lt_u32_e64 v6, v5
	s_cbranch_execz .LBB16_267
; %bb.266:
	s_wait_dscnt 0x0
	v_add_f64_e32 v[3:4], v[3:4], v[1:2]
.LBB16_267:
	s_wait_alu 0xfffe
	s_or_b32 exec_lo, exec_lo, s1
	v_cmp_gt_u32_e32 vcc_lo, 28, v9
	v_add_nc_u32_e32 v6, 4, v9
	s_mov_b32 s1, exec_lo
	s_wait_dscnt 0x1
	s_wait_alu 0xfffd
	v_cndmask_b32_e64 v1, 0, 1, vcc_lo
	s_delay_alu instid0(VALU_DEP_1) | instskip(SKIP_1) | instid1(VALU_DEP_1)
	v_lshlrev_b32_e32 v1, 2, v1
	s_wait_dscnt 0x0
	v_add_lshl_u32 v2, v1, v9, 2
	ds_bpermute_b32 v1, v2, v3
	ds_bpermute_b32 v2, v2, v4
	v_cmpx_lt_u32_e64 v6, v5
	s_cbranch_execz .LBB16_269
; %bb.268:
	s_wait_dscnt 0x0
	v_add_f64_e32 v[3:4], v[3:4], v[1:2]
.LBB16_269:
	s_wait_alu 0xfffe
	s_or_b32 exec_lo, exec_lo, s1
	v_cmp_gt_u32_e32 vcc_lo, 24, v9
	v_add_nc_u32_e32 v6, 8, v9
	s_mov_b32 s1, exec_lo
	s_wait_dscnt 0x1
	s_wait_alu 0xfffd
	v_cndmask_b32_e64 v1, 0, 1, vcc_lo
	s_delay_alu instid0(VALU_DEP_1) | instskip(SKIP_1) | instid1(VALU_DEP_1)
	v_lshlrev_b32_e32 v1, 3, v1
	s_wait_dscnt 0x0
	;; [unrolled: 20-line block ×3, first 2 shown]
	v_add_lshl_u32 v2, v1, v9, 2
	ds_bpermute_b32 v1, v2, v3
	ds_bpermute_b32 v2, v2, v4
	v_cmpx_lt_u32_e64 v6, v5
	s_cbranch_execz .LBB16_273
; %bb.272:
	s_wait_dscnt 0x0
	v_add_f64_e32 v[3:4], v[3:4], v[1:2]
.LBB16_273:
	s_wait_alu 0xfffe
	s_or_b32 exec_lo, exec_lo, s1
	s_delay_alu instid0(SALU_CYCLE_1)
	s_mov_b32 s1, exec_lo
	v_cmpx_eq_u32_e32 0, v9
	s_cbranch_execz .LBB16_275
; %bb.274:
	s_wait_dscnt 0x1
	v_lshrrev_b32_e32 v1, 2, v0
	s_delay_alu instid0(VALU_DEP_1)
	v_and_b32_e32 v1, 56, v1
	ds_store_b64 v1, v[3:4] offset:64
.LBB16_275:
	s_wait_alu 0xfffe
	s_or_b32 exec_lo, exec_lo, s1
	s_delay_alu instid0(SALU_CYCLE_1)
	s_mov_b32 s1, exec_lo
	global_wb scope:SCOPE_SE
	s_wait_storecnt_dscnt 0x0
	s_barrier_signal -1
	s_barrier_wait -1
	global_inv scope:SCOPE_SE
	v_cmpx_gt_u32_e32 8, v0
	s_cbranch_execz .LBB16_283
; %bb.276:
	v_lshlrev_b32_e32 v1, 3, v9
	v_and_b32_e32 v5, 7, v9
	s_add_co_i32 s0, s0, 31
	s_mov_b32 s2, exec_lo
	s_wait_alu 0xfffe
	s_lshr_b32 s0, s0, 5
	ds_load_b64 v[3:4], v1 offset:64
	v_cmp_ne_u32_e32 vcc_lo, 7, v5
	v_add_nc_u32_e32 v6, 1, v5
	s_wait_alu 0xfffd
	v_add_co_ci_u32_e32 v1, vcc_lo, 0, v9, vcc_lo
	s_delay_alu instid0(VALU_DEP_1)
	v_lshlrev_b32_e32 v2, 2, v1
	s_wait_dscnt 0x0
	ds_bpermute_b32 v1, v2, v3
	ds_bpermute_b32 v2, v2, v4
	s_wait_alu 0xfffe
	v_cmpx_gt_u32_e64 s0, v6
	s_cbranch_execz .LBB16_278
; %bb.277:
	s_wait_dscnt 0x0
	v_add_f64_e32 v[3:4], v[3:4], v[1:2]
.LBB16_278:
	s_or_b32 exec_lo, exec_lo, s2
	v_cmp_gt_u32_e32 vcc_lo, 6, v5
	v_add_nc_u32_e32 v6, 2, v5
	s_mov_b32 s2, exec_lo
	s_wait_dscnt 0x1
	s_wait_alu 0xfffd
	v_cndmask_b32_e64 v1, 0, 1, vcc_lo
	s_delay_alu instid0(VALU_DEP_1) | instskip(SKIP_1) | instid1(VALU_DEP_1)
	v_lshlrev_b32_e32 v1, 1, v1
	s_wait_dscnt 0x0
	v_add_lshl_u32 v2, v1, v9, 2
	ds_bpermute_b32 v1, v2, v3
	ds_bpermute_b32 v2, v2, v4
	v_cmpx_gt_u32_e64 s0, v6
	s_cbranch_execz .LBB16_280
; %bb.279:
	s_wait_dscnt 0x0
	v_add_f64_e32 v[3:4], v[3:4], v[1:2]
.LBB16_280:
	s_wait_alu 0xfffe
	s_or_b32 exec_lo, exec_lo, s2
	v_cmp_gt_u32_e32 vcc_lo, 4, v5
	v_add_nc_u32_e32 v5, 4, v5
	s_wait_dscnt 0x1
	s_wait_alu 0xfffd
	v_cndmask_b32_e64 v1, 0, 1, vcc_lo
	s_delay_alu instid0(VALU_DEP_2) | instskip(NEXT) | instid1(VALU_DEP_2)
	v_cmp_gt_u32_e32 vcc_lo, s0, v5
	v_lshlrev_b32_e32 v1, 2, v1
	s_wait_dscnt 0x0
	s_delay_alu instid0(VALU_DEP_1)
	v_add_lshl_u32 v2, v1, v9, 2
	ds_bpermute_b32 v1, v2, v3
	ds_bpermute_b32 v2, v2, v4
	s_and_saveexec_b32 s0, vcc_lo
	s_cbranch_execz .LBB16_282
; %bb.281:
	s_wait_dscnt 0x0
	v_add_f64_e32 v[3:4], v[3:4], v[1:2]
.LBB16_282:
	s_wait_alu 0xfffe
	s_or_b32 exec_lo, exec_lo, s0
.LBB16_283:
	s_wait_alu 0xfffe
	s_or_b32 exec_lo, exec_lo, s1
.LBB16_284:
	s_delay_alu instid0(SALU_CYCLE_1)
	s_mov_b32 s0, exec_lo
	v_cmpx_eq_u32_e32 0, v0
	s_cbranch_execz .LBB16_286
; %bb.285:
	v_readlane_b32 s8, v255, 0
	v_readlane_b32 s9, v255, 1
	;; [unrolled: 1-line block ×4, first 2 shown]
	s_lshl_b64 s[0:1], s[20:21], 3
	v_readlane_b32 s6, v255, 4
	s_wait_dscnt 0x1
	s_wait_alu 0xf1ff
	v_add_f64_e32 v[0:1], s[8:9], v[3:4]
	v_readlane_b32 s7, v255, 5
	s_cmp_eq_u64 s[4:5], 0
	s_wait_dscnt 0x0
	v_mov_b32_e32 v2, 0
	s_cselect_b32 s2, -1, 0
	s_wait_alu 0xfffe
	s_add_nc_u64 s[0:1], s[6:7], s[0:1]
	s_delay_alu instid0(VALU_DEP_3) | instskip(NEXT) | instid1(VALU_DEP_4)
	v_cndmask_b32_e64 v1, v1, s9, s2
	v_cndmask_b32_e64 v0, v0, s8, s2
	global_store_b64 v2, v[0:1], s[0:1]
.LBB16_286:
	s_nop 0
	s_sendmsg sendmsg(MSG_DEALLOC_VGPRS)
	s_endpgm
	.section	.rodata,"a",@progbits
	.p2align	6, 0x0
	.amdhsa_kernel _ZN7rocprim6detail19block_reduce_kernelILb1ELb1ELj8ENS0_21wrapped_reduce_configINS_14default_configEdEEdN6thrust11hip_rocprim26transform_input_iterator_tIdNS5_6detail15normal_iteratorINS5_10device_ptrIdEEEEZ4mainEUldE_EEPddNS5_4plusIdEEEEvT4_mT5_T6_T7_
		.amdhsa_group_segment_fixed_size 128
		.amdhsa_private_segment_fixed_size 28
		.amdhsa_kernarg_size 44
		.amdhsa_user_sgpr_count 2
		.amdhsa_user_sgpr_dispatch_ptr 0
		.amdhsa_user_sgpr_queue_ptr 0
		.amdhsa_user_sgpr_kernarg_segment_ptr 1
		.amdhsa_user_sgpr_dispatch_id 0
		.amdhsa_user_sgpr_private_segment_size 0
		.amdhsa_wavefront_size32 1
		.amdhsa_uses_dynamic_stack 0
		.amdhsa_enable_private_segment 1
		.amdhsa_system_sgpr_workgroup_id_x 1
		.amdhsa_system_sgpr_workgroup_id_y 0
		.amdhsa_system_sgpr_workgroup_id_z 0
		.amdhsa_system_sgpr_workgroup_info 0
		.amdhsa_system_vgpr_workitem_id 0
		.amdhsa_next_free_vgpr 256
		.amdhsa_next_free_sgpr 105
		.amdhsa_reserve_vcc 1
		.amdhsa_float_round_mode_32 0
		.amdhsa_float_round_mode_16_64 0
		.amdhsa_float_denorm_mode_32 3
		.amdhsa_float_denorm_mode_16_64 3
		.amdhsa_fp16_overflow 0
		.amdhsa_workgroup_processor_mode 1
		.amdhsa_memory_ordered 1
		.amdhsa_forward_progress 0
		.amdhsa_round_robin_scheduling 0
		.amdhsa_exception_fp_ieee_invalid_op 0
		.amdhsa_exception_fp_denorm_src 0
		.amdhsa_exception_fp_ieee_div_zero 0
		.amdhsa_exception_fp_ieee_overflow 0
		.amdhsa_exception_fp_ieee_underflow 0
		.amdhsa_exception_fp_ieee_inexact 0
		.amdhsa_exception_int_div_zero 0
	.end_amdhsa_kernel
	.section	.text._ZN7rocprim6detail19block_reduce_kernelILb1ELb1ELj8ENS0_21wrapped_reduce_configINS_14default_configEdEEdN6thrust11hip_rocprim26transform_input_iterator_tIdNS5_6detail15normal_iteratorINS5_10device_ptrIdEEEEZ4mainEUldE_EEPddNS5_4plusIdEEEEvT4_mT5_T6_T7_,"axG",@progbits,_ZN7rocprim6detail19block_reduce_kernelILb1ELb1ELj8ENS0_21wrapped_reduce_configINS_14default_configEdEEdN6thrust11hip_rocprim26transform_input_iterator_tIdNS5_6detail15normal_iteratorINS5_10device_ptrIdEEEEZ4mainEUldE_EEPddNS5_4plusIdEEEEvT4_mT5_T6_T7_,comdat
.Lfunc_end16:
	.size	_ZN7rocprim6detail19block_reduce_kernelILb1ELb1ELj8ENS0_21wrapped_reduce_configINS_14default_configEdEEdN6thrust11hip_rocprim26transform_input_iterator_tIdNS5_6detail15normal_iteratorINS5_10device_ptrIdEEEEZ4mainEUldE_EEPddNS5_4plusIdEEEEvT4_mT5_T6_T7_, .Lfunc_end16-_ZN7rocprim6detail19block_reduce_kernelILb1ELb1ELj8ENS0_21wrapped_reduce_configINS_14default_configEdEEdN6thrust11hip_rocprim26transform_input_iterator_tIdNS5_6detail15normal_iteratorINS5_10device_ptrIdEEEEZ4mainEUldE_EEPddNS5_4plusIdEEEEvT4_mT5_T6_T7_
                                        ; -- End function
	.section	.AMDGPU.csdata,"",@progbits
; Kernel info:
; codeLenInByte = 16324
; NumSgprs: 107
; NumVgprs: 256
; ScratchSize: 28
; MemoryBound: 1
; FloatMode: 240
; IeeeMode: 1
; LDSByteSize: 128 bytes/workgroup (compile time only)
; SGPRBlocks: 13
; VGPRBlocks: 31
; NumSGPRsForWavesPerEU: 107
; NumVGPRsForWavesPerEU: 256
; Occupancy: 5
; WaveLimiterHint : 1
; COMPUTE_PGM_RSRC2:SCRATCH_EN: 1
; COMPUTE_PGM_RSRC2:USER_SGPR: 2
; COMPUTE_PGM_RSRC2:TRAP_HANDLER: 0
; COMPUTE_PGM_RSRC2:TGID_X_EN: 1
; COMPUTE_PGM_RSRC2:TGID_Y_EN: 0
; COMPUTE_PGM_RSRC2:TGID_Z_EN: 0
; COMPUTE_PGM_RSRC2:TIDIG_COMP_CNT: 0
	.section	.text._ZN7rocprim6detail19block_reduce_kernelILb1ELb1ELj16ENS0_21wrapped_reduce_configINS_14default_configEdEEdN6thrust11hip_rocprim26transform_input_iterator_tIdNS5_6detail15normal_iteratorINS5_10device_ptrIdEEEEZ4mainEUldE_EEPddNS5_4plusIdEEEEvT4_mT5_T6_T7_,"axG",@progbits,_ZN7rocprim6detail19block_reduce_kernelILb1ELb1ELj16ENS0_21wrapped_reduce_configINS_14default_configEdEEdN6thrust11hip_rocprim26transform_input_iterator_tIdNS5_6detail15normal_iteratorINS5_10device_ptrIdEEEEZ4mainEUldE_EEPddNS5_4plusIdEEEEvT4_mT5_T6_T7_,comdat
	.globl	_ZN7rocprim6detail19block_reduce_kernelILb1ELb1ELj16ENS0_21wrapped_reduce_configINS_14default_configEdEEdN6thrust11hip_rocprim26transform_input_iterator_tIdNS5_6detail15normal_iteratorINS5_10device_ptrIdEEEEZ4mainEUldE_EEPddNS5_4plusIdEEEEvT4_mT5_T6_T7_ ; -- Begin function _ZN7rocprim6detail19block_reduce_kernelILb1ELb1ELj16ENS0_21wrapped_reduce_configINS_14default_configEdEEdN6thrust11hip_rocprim26transform_input_iterator_tIdNS5_6detail15normal_iteratorINS5_10device_ptrIdEEEEZ4mainEUldE_EEPddNS5_4plusIdEEEEvT4_mT5_T6_T7_
	.p2align	8
	.type	_ZN7rocprim6detail19block_reduce_kernelILb1ELb1ELj16ENS0_21wrapped_reduce_configINS_14default_configEdEEdN6thrust11hip_rocprim26transform_input_iterator_tIdNS5_6detail15normal_iteratorINS5_10device_ptrIdEEEEZ4mainEUldE_EEPddNS5_4plusIdEEEEvT4_mT5_T6_T7_,@function
_ZN7rocprim6detail19block_reduce_kernelILb1ELb1ELj16ENS0_21wrapped_reduce_configINS_14default_configEdEEdN6thrust11hip_rocprim26transform_input_iterator_tIdNS5_6detail15normal_iteratorINS5_10device_ptrIdEEEEZ4mainEUldE_EEPddNS5_4plusIdEEEEvT4_mT5_T6_T7_: ; @_ZN7rocprim6detail19block_reduce_kernelILb1ELb1ELj16ENS0_21wrapped_reduce_configINS_14default_configEdEEdN6thrust11hip_rocprim26transform_input_iterator_tIdNS5_6detail15normal_iteratorINS5_10device_ptrIdEEEEZ4mainEUldE_EEPddNS5_4plusIdEEEEvT4_mT5_T6_T7_
; %bb.0:
	s_clause 0x2
	s_load_b128 s[8:11], s[0:1], 0x10
	s_load_b64 s[2:3], s[0:1], 0x0
	s_load_b64 s[0:1], s[0:1], 0x20
                                        ; implicit-def: $vgpr251 : SGPR spill to VGPR lane
	s_mov_b32 s12, ttmp9
	v_lshlrev_b32_e32 v1, 3, v0
	s_wait_kmcnt 0x0
	v_writelane_b32 v251, s0, 0
	v_writelane_b32 v251, s1, 1
	s_mov_b32 s1, 0
	s_lshl_b32 s0, ttmp9, 16
	s_wait_alu 0xfffe
	s_mov_b32 s13, s1
	s_lshl_b64 s[4:5], s[0:1], 3
	v_writelane_b32 v251, s8, 2
	s_add_nc_u64 s[2:3], s[2:3], s[4:5]
	s_lshr_b64 s[6:7], s[8:9], 16
	v_add_co_u32 v1, s1, s2, v1
	v_writelane_b32 v251, s9, 3
	s_wait_alu 0xf1ff
	v_add_co_ci_u32_e64 v2, null, s3, 0, s1
	v_writelane_b32 v251, s10, 4
	v_writelane_b32 v251, s11, 5
	;; [unrolled: 1-line block ×3, first 2 shown]
	s_cmp_lg_u64 s[6:7], s[12:13]
	v_writelane_b32 v251, s13, 7
	s_cbranch_scc0 .LBB17_6
; %bb.1:
	s_clause 0x9
	global_load_b64 v[3:4], v[1:2], off
	global_load_b64 v[5:6], v[1:2], off offset:2048
	global_load_b64 v[7:8], v[1:2], off offset:4096
	;; [unrolled: 1-line block ×9, first 2 shown]
	s_mov_b32 s1, exec_lo
	s_wait_loadcnt 0x8
	v_add_f64_e64 v[3:4], |v[3:4]|, |v[5:6]|
	global_load_b64 v[5:6], v[1:2], off offset:20480
	s_wait_loadcnt 0x8
	v_add_f64_e64 v[3:4], v[3:4], |v[7:8]|
	global_load_b64 v[7:8], v[1:2], off offset:22528
	s_wait_loadcnt 0x8
	v_add_f64_e64 v[3:4], v[3:4], |v[9:10]|
	;; [unrolled: 3-line block ×154, first 2 shown]
	global_load_b64 v[7:8], v[1:2], off offset:335872
	s_wait_loadcnt 0x8
	v_add_f64_e64 v[3:4], |v[9:10]|, v[3:4]
	global_load_b64 v[9:10], v[1:2], off offset:337920
	s_wait_loadcnt 0x8
	v_add_f64_e64 v[3:4], |v[11:12]|, v[3:4]
	;; [unrolled: 3-line block ×92, first 2 shown]
	s_wait_loadcnt 0x7
	s_delay_alu instid0(VALU_DEP_1) | instskip(SKIP_1) | instid1(VALU_DEP_1)
	v_add_f64_e64 v[3:4], |v[13:14]|, v[3:4]
	s_wait_loadcnt 0x6
	v_add_f64_e64 v[3:4], |v[15:16]|, v[3:4]
	s_wait_loadcnt 0x5
	s_delay_alu instid0(VALU_DEP_1) | instskip(SKIP_1) | instid1(VALU_DEP_1)
	v_add_f64_e64 v[3:4], |v[17:18]|, v[3:4]
	s_wait_loadcnt 0x4
	v_add_f64_e64 v[3:4], |v[19:20]|, v[3:4]
	s_wait_loadcnt 0x3
	s_delay_alu instid0(VALU_DEP_1) | instskip(SKIP_1) | instid1(VALU_DEP_1)
	v_add_f64_e64 v[3:4], |v[21:22]|, v[3:4]
	s_wait_loadcnt 0x2
	v_add_f64_e64 v[3:4], |v[5:6]|, v[3:4]
	s_wait_loadcnt 0x1
	s_delay_alu instid0(VALU_DEP_1) | instskip(SKIP_1) | instid1(VALU_DEP_1)
	v_add_f64_e64 v[3:4], |v[7:8]|, v[3:4]
	s_wait_loadcnt 0x0
	v_add_f64_e64 v[3:4], |v[9:10]|, v[3:4]
	s_delay_alu instid0(VALU_DEP_1) | instskip(NEXT) | instid1(VALU_DEP_2)
	v_mov_b32_dpp v5, v3 quad_perm:[1,0,3,2] row_mask:0xf bank_mask:0xf
	v_mov_b32_dpp v6, v4 quad_perm:[1,0,3,2] row_mask:0xf bank_mask:0xf
	s_delay_alu instid0(VALU_DEP_1) | instskip(NEXT) | instid1(VALU_DEP_1)
	v_add_f64_e32 v[3:4], v[3:4], v[5:6]
	v_mov_b32_dpp v5, v3 quad_perm:[2,3,0,1] row_mask:0xf bank_mask:0xf
	s_delay_alu instid0(VALU_DEP_2) | instskip(NEXT) | instid1(VALU_DEP_1)
	v_mov_b32_dpp v6, v4 quad_perm:[2,3,0,1] row_mask:0xf bank_mask:0xf
	v_add_f64_e32 v[3:4], v[3:4], v[5:6]
	s_delay_alu instid0(VALU_DEP_1) | instskip(NEXT) | instid1(VALU_DEP_2)
	v_mov_b32_dpp v5, v3 row_ror:4 row_mask:0xf bank_mask:0xf
	v_mov_b32_dpp v6, v4 row_ror:4 row_mask:0xf bank_mask:0xf
	s_delay_alu instid0(VALU_DEP_1) | instskip(NEXT) | instid1(VALU_DEP_1)
	v_add_f64_e32 v[3:4], v[3:4], v[5:6]
	v_mov_b32_dpp v5, v3 row_ror:8 row_mask:0xf bank_mask:0xf
	s_delay_alu instid0(VALU_DEP_2) | instskip(NEXT) | instid1(VALU_DEP_1)
	v_mov_b32_dpp v6, v4 row_ror:8 row_mask:0xf bank_mask:0xf
	v_add_f64_e32 v[3:4], v[3:4], v[5:6]
	ds_swizzle_b32 v5, v3 offset:swizzle(BROADCAST,32,15)
	ds_swizzle_b32 v6, v4 offset:swizzle(BROADCAST,32,15)
	s_wait_dscnt 0x0
	v_add_f64_e32 v[3:4], v[3:4], v[5:6]
	v_mov_b32_e32 v5, 0
	ds_bpermute_b32 v3, v5, v3 offset:124
	ds_bpermute_b32 v4, v5, v4 offset:124
	v_mbcnt_lo_u32_b32 v5, -1, 0
	s_delay_alu instid0(VALU_DEP_1)
	v_cmpx_eq_u32_e32 0, v5
	s_cbranch_execz .LBB17_3
; %bb.2:
	v_lshrrev_b32_e32 v6, 2, v0
	s_delay_alu instid0(VALU_DEP_1)
	v_and_b32_e32 v6, 56, v6
	s_wait_dscnt 0x0
	ds_store_b64 v6, v[3:4]
.LBB17_3:
	s_wait_alu 0xfffe
	s_or_b32 exec_lo, exec_lo, s1
	s_delay_alu instid0(SALU_CYCLE_1)
	s_mov_b32 s1, exec_lo
	global_wb scope:SCOPE_SE
	s_wait_dscnt 0x0
	s_barrier_signal -1
	s_barrier_wait -1
	global_inv scope:SCOPE_SE
	v_cmpx_gt_u32_e32 32, v0
	s_cbranch_execz .LBB17_5
; %bb.4:
	v_and_b32_e32 v8, 7, v5
	s_delay_alu instid0(VALU_DEP_1) | instskip(SKIP_4) | instid1(VALU_DEP_2)
	v_lshlrev_b32_e32 v3, 3, v8
	v_cmp_ne_u32_e32 vcc_lo, 7, v8
	ds_load_b64 v[3:4], v3
	v_add_co_ci_u32_e32 v6, vcc_lo, 0, v5, vcc_lo
	v_cmp_gt_u32_e32 vcc_lo, 6, v8
	v_lshlrev_b32_e32 v7, 2, v6
	s_wait_dscnt 0x0
	ds_bpermute_b32 v6, v7, v3
	ds_bpermute_b32 v7, v7, v4
	s_wait_dscnt 0x0
	v_add_f64_e32 v[3:4], v[3:4], v[6:7]
	s_wait_alu 0xfffd
	v_cndmask_b32_e64 v6, 0, 1, vcc_lo
	v_cmp_gt_u32_e32 vcc_lo, 4, v8
	s_delay_alu instid0(VALU_DEP_2) | instskip(NEXT) | instid1(VALU_DEP_1)
	v_lshlrev_b32_e32 v6, 1, v6
	v_add_lshl_u32 v7, v6, v5, 2
	ds_bpermute_b32 v6, v7, v3
	ds_bpermute_b32 v7, v7, v4
	s_wait_dscnt 0x0
	v_add_f64_e32 v[3:4], v[3:4], v[6:7]
	s_wait_alu 0xfffd
	v_cndmask_b32_e64 v6, 0, 1, vcc_lo
	s_delay_alu instid0(VALU_DEP_1) | instskip(NEXT) | instid1(VALU_DEP_1)
	v_lshlrev_b32_e32 v6, 2, v6
	v_add_lshl_u32 v6, v6, v5, 2
	ds_bpermute_b32 v5, v6, v3
	ds_bpermute_b32 v6, v6, v4
	s_wait_dscnt 0x0
	v_add_f64_e32 v[3:4], v[3:4], v[5:6]
.LBB17_5:
	s_wait_alu 0xfffe
	s_or_b32 exec_lo, exec_lo, s1
	s_branch .LBB17_540
.LBB17_6:
                                        ; implicit-def: $vgpr3_vgpr4
	s_cbranch_execz .LBB17_540
; %bb.7:
	s_delay_alu instid0(VALU_DEP_1) | instskip(SKIP_3) | instid1(VALU_DEP_4)
	v_readlane_b32 s4, v251, 2
	v_readlane_b32 s5, v251, 3
	v_readlane_b32 s6, v251, 4
	v_readlane_b32 s7, v251, 5
                                        ; implicit-def: $vgpr3_vgpr4
	s_sub_co_i32 s44, s4, s0
	s_mov_b32 s0, exec_lo
	v_cmpx_gt_u32_e64 s44, v0
	s_cbranch_execz .LBB17_9
; %bb.8:
	global_load_b64 v[3:4], v[1:2], off
	s_wait_loadcnt 0x0
	v_and_b32_e32 v4, 0x7fffffff, v4
.LBB17_9:
	s_wait_alu 0xfffe
	s_or_b32 exec_lo, exec_lo, s0
	v_or_b32_e32 v5, 0x100, v0
	s_delay_alu instid0(VALU_DEP_1) | instskip(SKIP_1) | instid1(VALU_DEP_1)
	v_cmp_gt_u32_e64 s1, s44, v5
                                        ; implicit-def: $vgpr5_vgpr6
                                        ; kill: killed $vgpr5_vgpr6
	s_wait_alu 0xf1ff
	v_writelane_b32 v251, s1, 8
	s_and_saveexec_b32 s0, s1
	s_cbranch_execz .LBB17_11
; %bb.10:
	global_load_b64 v[5:6], v[1:2], off offset:2048
	s_wait_loadcnt 0x0
	v_and_b32_e32 v6, 0x7fffffff, v6
	scratch_store_b64 off, v[5:6], off      ; 8-byte Folded Spill
.LBB17_11:
	s_wait_alu 0xfffe
	s_or_b32 exec_lo, exec_lo, s0
	v_or_b32_e32 v5, 0x200, v0
	s_delay_alu instid0(VALU_DEP_1) | instskip(SKIP_1) | instid1(VALU_DEP_1)
	v_cmp_gt_u32_e64 s1, s44, v5
                                        ; implicit-def: $vgpr5_vgpr6
                                        ; kill: killed $vgpr5_vgpr6
	s_wait_alu 0xf1ff
	v_writelane_b32 v251, s1, 9
	s_and_saveexec_b32 s0, s1
	s_cbranch_execz .LBB17_13
; %bb.12:
	global_load_b64 v[5:6], v[1:2], off offset:4096
	s_wait_loadcnt 0x0
	v_and_b32_e32 v6, 0x7fffffff, v6
	scratch_store_b64 off, v[5:6], off offset:8 ; 8-byte Folded Spill
.LBB17_13:
	s_wait_alu 0xfffe
	s_or_b32 exec_lo, exec_lo, s0
	v_or_b32_e32 v5, 0x300, v0
	s_delay_alu instid0(VALU_DEP_1) | instskip(SKIP_1) | instid1(VALU_DEP_1)
	v_cmp_gt_u32_e64 s1, s44, v5
                                        ; implicit-def: $vgpr5_vgpr6
                                        ; kill: killed $vgpr5_vgpr6
	s_wait_alu 0xf1ff
	v_writelane_b32 v251, s1, 10
	s_and_saveexec_b32 s0, s1
	s_cbranch_execz .LBB17_15
; %bb.14:
	global_load_b64 v[5:6], v[1:2], off offset:6144
	s_wait_loadcnt 0x0
	v_and_b32_e32 v6, 0x7fffffff, v6
	scratch_store_b64 off, v[5:6], off offset:16 ; 8-byte Folded Spill
.LBB17_15:
	;; [unrolled: 17-line block ×23, first 2 shown]
	s_wait_alu 0xfffe
	s_or_b32 exec_lo, exec_lo, s0
	v_or_b32_e32 v5, 0x1900, v0
                                        ; implicit-def: $vgpr252 : SGPR spill to VGPR lane
	s_delay_alu instid0(VALU_DEP_1) | instskip(SKIP_1) | instid1(VALU_DEP_1)
	v_cmp_gt_u32_e64 s1, s44, v5
                                        ; implicit-def: $vgpr5_vgpr6
                                        ; kill: killed $vgpr5_vgpr6
	s_wait_alu 0xf1ff
	v_writelane_b32 v252, s1, 0
	s_and_saveexec_b32 s0, s1
	s_cbranch_execz .LBB17_59
; %bb.58:
	global_load_b64 v[5:6], v[1:2], off offset:51200
	s_wait_loadcnt 0x0
	v_and_b32_e32 v6, 0x7fffffff, v6
	scratch_store_b64 off, v[5:6], off offset:192 ; 8-byte Folded Spill
.LBB17_59:
	s_wait_alu 0xfffe
	s_or_b32 exec_lo, exec_lo, s0
	v_or_b32_e32 v5, 0x1a00, v0
	s_delay_alu instid0(VALU_DEP_1) | instskip(SKIP_1) | instid1(VALU_DEP_1)
	v_cmp_gt_u32_e64 s1, s44, v5
                                        ; implicit-def: $vgpr5_vgpr6
                                        ; kill: killed $vgpr5_vgpr6
	s_wait_alu 0xf1ff
	v_writelane_b32 v252, s1, 1
	s_and_saveexec_b32 s0, s1
	s_cbranch_execz .LBB17_61
; %bb.60:
	global_load_b64 v[5:6], v[1:2], off offset:53248
	s_wait_loadcnt 0x0
	v_and_b32_e32 v6, 0x7fffffff, v6
	scratch_store_b64 off, v[5:6], off offset:200 ; 8-byte Folded Spill
.LBB17_61:
	s_wait_alu 0xfffe
	s_or_b32 exec_lo, exec_lo, s0
	v_or_b32_e32 v5, 0x1b00, v0
	;; [unrolled: 17-line block ×32, first 2 shown]
                                        ; implicit-def: $vgpr253 : SGPR spill to VGPR lane
	s_delay_alu instid0(VALU_DEP_1) | instskip(SKIP_1) | instid1(VALU_DEP_1)
	v_cmp_gt_u32_e64 s1, s44, v5
                                        ; implicit-def: $vgpr5_vgpr6
                                        ; kill: killed $vgpr5_vgpr6
	s_wait_alu 0xf1ff
	v_writelane_b32 v253, s1, 0
	s_and_saveexec_b32 s0, s1
	s_cbranch_execz .LBB17_123
; %bb.122:
	global_load_b64 v[5:6], v[1:2], off offset:116736
	s_wait_loadcnt 0x0
	v_and_b32_e32 v6, 0x7fffffff, v6
	scratch_store_b64 off, v[5:6], off offset:448 ; 8-byte Folded Spill
.LBB17_123:
	s_wait_alu 0xfffe
	s_or_b32 exec_lo, exec_lo, s0
	v_or_b32_e32 v5, 0x3a00, v0
	s_delay_alu instid0(VALU_DEP_1) | instskip(SKIP_1) | instid1(VALU_DEP_1)
	v_cmp_gt_u32_e64 s1, s44, v5
                                        ; implicit-def: $vgpr5_vgpr6
                                        ; kill: killed $vgpr5_vgpr6
	s_wait_alu 0xf1ff
	v_writelane_b32 v253, s1, 1
	s_and_saveexec_b32 s0, s1
	s_cbranch_execz .LBB17_125
; %bb.124:
	global_load_b64 v[5:6], v[1:2], off offset:118784
	s_wait_loadcnt 0x0
	v_and_b32_e32 v6, 0x7fffffff, v6
	scratch_store_b64 off, v[5:6], off offset:456 ; 8-byte Folded Spill
.LBB17_125:
	s_wait_alu 0xfffe
	s_or_b32 exec_lo, exec_lo, s0
	v_or_b32_e32 v5, 0x3b00, v0
	;; [unrolled: 17-line block ×32, first 2 shown]
                                        ; implicit-def: $vgpr254 : SGPR spill to VGPR lane
	s_delay_alu instid0(VALU_DEP_1) | instskip(SKIP_1) | instid1(VALU_DEP_1)
	v_cmp_gt_u32_e64 s1, s44, v5
                                        ; implicit-def: $vgpr5_vgpr6
                                        ; kill: killed $vgpr5_vgpr6
	s_wait_alu 0xf1ff
	v_writelane_b32 v254, s1, 0
	s_and_saveexec_b32 s0, s1
	s_cbranch_execz .LBB17_187
; %bb.186:
	global_load_b64 v[5:6], v[1:2], off offset:182272
	s_wait_loadcnt 0x0
	v_and_b32_e32 v6, 0x7fffffff, v6
	scratch_store_b64 off, v[5:6], off offset:704 ; 8-byte Folded Spill
.LBB17_187:
	s_wait_alu 0xfffe
	s_or_b32 exec_lo, exec_lo, s0
	v_or_b32_e32 v5, 0x5a00, v0
	s_delay_alu instid0(VALU_DEP_1) | instskip(SKIP_1) | instid1(VALU_DEP_1)
	v_cmp_gt_u32_e64 s1, s44, v5
                                        ; implicit-def: $vgpr5_vgpr6
                                        ; kill: killed $vgpr5_vgpr6
	s_wait_alu 0xf1ff
	v_writelane_b32 v254, s1, 1
	s_and_saveexec_b32 s0, s1
	s_cbranch_execz .LBB17_189
; %bb.188:
	global_load_b64 v[5:6], v[1:2], off offset:184320
	s_wait_loadcnt 0x0
	v_and_b32_e32 v6, 0x7fffffff, v6
	scratch_store_b64 off, v[5:6], off offset:712 ; 8-byte Folded Spill
.LBB17_189:
	s_wait_alu 0xfffe
	s_or_b32 exec_lo, exec_lo, s0
	v_or_b32_e32 v5, 0x5b00, v0
	;; [unrolled: 17-line block ×32, first 2 shown]
                                        ; implicit-def: $vgpr255 : SGPR spill to VGPR lane
	s_delay_alu instid0(VALU_DEP_1) | instskip(SKIP_1) | instid1(VALU_DEP_1)
	v_cmp_gt_u32_e64 s1, s44, v5
                                        ; implicit-def: $vgpr5_vgpr6
                                        ; kill: killed $vgpr5_vgpr6
	s_wait_alu 0xf1ff
	v_writelane_b32 v255, s1, 0
	s_and_saveexec_b32 s0, s1
	s_cbranch_execz .LBB17_251
; %bb.250:
	global_load_b64 v[5:6], v[1:2], off offset:247808
	s_wait_loadcnt 0x0
	v_and_b32_e32 v6, 0x7fffffff, v6
	scratch_store_b64 off, v[5:6], off offset:960 ; 8-byte Folded Spill
.LBB17_251:
	s_wait_alu 0xfffe
	s_or_b32 exec_lo, exec_lo, s0
	v_or_b32_e32 v5, 0x7a00, v0
	s_delay_alu instid0(VALU_DEP_1) | instskip(SKIP_1) | instid1(VALU_DEP_1)
	v_cmp_gt_u32_e64 s1, s44, v5
                                        ; implicit-def: $vgpr5_vgpr6
                                        ; kill: killed $vgpr5_vgpr6
	s_wait_alu 0xf1ff
	v_writelane_b32 v255, s1, 1
	s_and_saveexec_b32 s0, s1
	s_cbranch_execz .LBB17_253
; %bb.252:
	global_load_b64 v[5:6], v[1:2], off offset:249856
	s_wait_loadcnt 0x0
	v_and_b32_e32 v6, 0x7fffffff, v6
	scratch_store_b64 off, v[5:6], off offset:968 ; 8-byte Folded Spill
.LBB17_253:
	s_wait_alu 0xfffe
	s_or_b32 exec_lo, exec_lo, s0
	v_or_b32_e32 v5, 0x7b00, v0
	s_delay_alu instid0(VALU_DEP_1) | instskip(SKIP_1) | instid1(VALU_DEP_1)
	v_cmp_gt_u32_e64 s1, s44, v5
                                        ; implicit-def: $vgpr5_vgpr6
                                        ; kill: killed $vgpr5_vgpr6
	s_wait_alu 0xf1ff
	v_writelane_b32 v255, s1, 2
	s_and_saveexec_b32 s0, s1
	s_cbranch_execz .LBB17_255
; %bb.254:
	global_load_b64 v[5:6], v[1:2], off offset:251904
	s_wait_loadcnt 0x0
	v_and_b32_e32 v6, 0x7fffffff, v6
	scratch_store_b64 off, v[5:6], off offset:976 ; 8-byte Folded Spill
.LBB17_255:
	s_wait_alu 0xfffe
	s_or_b32 exec_lo, exec_lo, s0
	v_or_b32_e32 v5, 0x7c00, v0
	s_delay_alu instid0(VALU_DEP_1) | instskip(SKIP_1) | instid1(VALU_DEP_1)
	v_cmp_gt_u32_e64 s1, s44, v5
                                        ; implicit-def: $vgpr5_vgpr6
                                        ; kill: killed $vgpr5_vgpr6
	s_wait_alu 0xf1ff
	v_writelane_b32 v255, s1, 3
	s_and_saveexec_b32 s0, s1
	s_cbranch_execz .LBB17_257
; %bb.256:
	global_load_b64 v[5:6], v[1:2], off offset:253952
	s_wait_loadcnt 0x0
	v_and_b32_e32 v6, 0x7fffffff, v6
	scratch_store_b64 off, v[5:6], off offset:984 ; 8-byte Folded Spill
.LBB17_257:
	s_wait_alu 0xfffe
	s_or_b32 exec_lo, exec_lo, s0
	v_or_b32_e32 v5, 0x7d00, v0
	s_delay_alu instid0(VALU_DEP_1) | instskip(SKIP_1) | instid1(VALU_DEP_1)
	v_cmp_gt_u32_e64 s1, s44, v5
                                        ; implicit-def: $vgpr5_vgpr6
                                        ; kill: killed $vgpr5_vgpr6
	s_wait_alu 0xf1ff
	v_writelane_b32 v255, s1, 4
	s_and_saveexec_b32 s0, s1
	s_cbranch_execz .LBB17_259
; %bb.258:
	global_load_b64 v[5:6], v[1:2], off offset:256000
	s_wait_loadcnt 0x0
	v_and_b32_e32 v6, 0x7fffffff, v6
	scratch_store_b64 off, v[5:6], off offset:992 ; 8-byte Folded Spill
.LBB17_259:
	s_wait_alu 0xfffe
	s_or_b32 exec_lo, exec_lo, s0
	v_or_b32_e32 v5, 0x7e00, v0
	s_delay_alu instid0(VALU_DEP_1) | instskip(SKIP_1) | instid1(VALU_DEP_1)
	v_cmp_gt_u32_e64 s1, s44, v5
                                        ; implicit-def: $vgpr5_vgpr6
                                        ; kill: killed $vgpr5_vgpr6
	s_wait_alu 0xf1ff
	v_writelane_b32 v255, s1, 5
	s_and_saveexec_b32 s0, s1
	s_cbranch_execz .LBB17_261
; %bb.260:
	global_load_b64 v[5:6], v[1:2], off offset:258048
	s_wait_loadcnt 0x0
	v_and_b32_e32 v6, 0x7fffffff, v6
	scratch_store_b64 off, v[5:6], off offset:1000 ; 8-byte Folded Spill
.LBB17_261:
	s_wait_alu 0xfffe
	s_or_b32 exec_lo, exec_lo, s0
	v_or_b32_e32 v5, 0x7f00, v0
	s_delay_alu instid0(VALU_DEP_1) | instskip(SKIP_1) | instid1(VALU_DEP_1)
	v_cmp_gt_u32_e64 s1, s44, v5
                                        ; implicit-def: $vgpr5_vgpr6
                                        ; kill: killed $vgpr5_vgpr6
	s_wait_alu 0xf1ff
	v_writelane_b32 v255, s1, 6
	s_and_saveexec_b32 s0, s1
	s_cbranch_execz .LBB17_263
; %bb.262:
	global_load_b64 v[5:6], v[1:2], off offset:260096
	s_wait_loadcnt 0x0
	v_and_b32_e32 v6, 0x7fffffff, v6
	scratch_store_b64 off, v[5:6], off offset:1008 ; 8-byte Folded Spill
.LBB17_263:
	s_wait_alu 0xfffe
	s_or_b32 exec_lo, exec_lo, s0
	v_or_b32_e32 v5, 0x8000, v0
	s_delay_alu instid0(VALU_DEP_1) | instskip(SKIP_1) | instid1(VALU_DEP_1)
	v_cmp_gt_u32_e64 s1, s44, v5
                                        ; implicit-def: $vgpr5_vgpr6
                                        ; kill: killed $vgpr5_vgpr6
	s_wait_alu 0xf1ff
	v_writelane_b32 v255, s1, 7
	s_and_saveexec_b32 s0, s1
	s_cbranch_execz .LBB17_265
; %bb.264:
	global_load_b64 v[5:6], v[1:2], off offset:262144
	s_wait_loadcnt 0x0
	v_and_b32_e32 v6, 0x7fffffff, v6
	scratch_store_b64 off, v[5:6], off offset:1016 ; 8-byte Folded Spill
.LBB17_265:
	s_wait_alu 0xfffe
	s_or_b32 exec_lo, exec_lo, s0
	v_or_b32_e32 v5, 0x8100, v0
	s_delay_alu instid0(VALU_DEP_1) | instskip(SKIP_1) | instid1(VALU_DEP_1)
	v_cmp_gt_u32_e64 s1, s44, v5
                                        ; implicit-def: $vgpr5_vgpr6
                                        ; kill: killed $vgpr5_vgpr6
	s_wait_alu 0xf1ff
	v_writelane_b32 v255, s1, 8
	s_and_saveexec_b32 s0, s1
	s_cbranch_execz .LBB17_267
; %bb.266:
	global_load_b64 v[5:6], v[1:2], off offset:264192
	s_wait_loadcnt 0x0
	v_and_b32_e32 v6, 0x7fffffff, v6
	scratch_store_b64 off, v[5:6], off offset:1024 ; 8-byte Folded Spill
.LBB17_267:
	s_wait_alu 0xfffe
	s_or_b32 exec_lo, exec_lo, s0
	v_or_b32_e32 v5, 0x8200, v0
	s_delay_alu instid0(VALU_DEP_1) | instskip(SKIP_1) | instid1(VALU_DEP_1)
	v_cmp_gt_u32_e64 s1, s44, v5
                                        ; implicit-def: $vgpr5_vgpr6
                                        ; kill: killed $vgpr5_vgpr6
	s_wait_alu 0xf1ff
	v_writelane_b32 v255, s1, 9
	s_and_saveexec_b32 s0, s1
	s_cbranch_execz .LBB17_269
; %bb.268:
	global_load_b64 v[5:6], v[1:2], off offset:266240
	s_wait_loadcnt 0x0
	v_and_b32_e32 v6, 0x7fffffff, v6
	scratch_store_b64 off, v[5:6], off offset:1032 ; 8-byte Folded Spill
.LBB17_269:
	s_wait_alu 0xfffe
	s_or_b32 exec_lo, exec_lo, s0
	v_or_b32_e32 v5, 0x8300, v0
	s_delay_alu instid0(VALU_DEP_1) | instskip(SKIP_1) | instid1(VALU_DEP_1)
	v_cmp_gt_u32_e64 s1, s44, v5
                                        ; implicit-def: $vgpr5_vgpr6
                                        ; kill: killed $vgpr5_vgpr6
	s_wait_alu 0xf1ff
	v_writelane_b32 v255, s1, 10
	s_and_saveexec_b32 s0, s1
	s_cbranch_execz .LBB17_271
; %bb.270:
	global_load_b64 v[5:6], v[1:2], off offset:268288
	s_wait_loadcnt 0x0
	v_and_b32_e32 v6, 0x7fffffff, v6
	scratch_store_b64 off, v[5:6], off offset:1040 ; 8-byte Folded Spill
.LBB17_271:
	s_wait_alu 0xfffe
	s_or_b32 exec_lo, exec_lo, s0
	v_or_b32_e32 v5, 0x8400, v0
	s_delay_alu instid0(VALU_DEP_1) | instskip(SKIP_1) | instid1(VALU_DEP_1)
	v_cmp_gt_u32_e64 s1, s44, v5
                                        ; implicit-def: $vgpr5_vgpr6
                                        ; kill: killed $vgpr5_vgpr6
	s_wait_alu 0xf1ff
	v_writelane_b32 v255, s1, 11
	s_and_saveexec_b32 s0, s1
	s_cbranch_execz .LBB17_273
; %bb.272:
	global_load_b64 v[5:6], v[1:2], off offset:270336
	s_wait_loadcnt 0x0
	v_and_b32_e32 v6, 0x7fffffff, v6
	scratch_store_b64 off, v[5:6], off offset:1048 ; 8-byte Folded Spill
.LBB17_273:
	s_wait_alu 0xfffe
	s_or_b32 exec_lo, exec_lo, s0
	v_or_b32_e32 v5, 0x8500, v0
                                        ; implicit-def: $vgpr23_vgpr24
	s_delay_alu instid0(VALU_DEP_1) | instskip(SKIP_1) | instid1(VALU_DEP_1)
	v_cmp_gt_u32_e64 s1, s44, v5
	s_wait_alu 0xf1ff
	v_writelane_b32 v255, s1, 12
	s_and_saveexec_b32 s0, s1
	s_cbranch_execz .LBB17_275
; %bb.274:
	global_load_b64 v[23:24], v[1:2], off offset:272384
	s_wait_loadcnt 0x0
	v_and_b32_e32 v24, 0x7fffffff, v24
.LBB17_275:
	s_wait_alu 0xfffe
	s_or_b32 exec_lo, exec_lo, s0
	v_or_b32_e32 v5, 0x8600, v0
                                        ; implicit-def: $vgpr25_vgpr26
	s_delay_alu instid0(VALU_DEP_1) | instskip(SKIP_1) | instid1(VALU_DEP_1)
	v_cmp_gt_u32_e64 s1, s44, v5
	s_wait_alu 0xf1ff
	v_writelane_b32 v255, s1, 13
	s_and_saveexec_b32 s0, s1
	s_cbranch_execz .LBB17_277
; %bb.276:
	global_load_b64 v[25:26], v[1:2], off offset:274432
	s_wait_loadcnt 0x0
	v_and_b32_e32 v26, 0x7fffffff, v26
.LBB17_277:
	s_wait_alu 0xfffe
	s_or_b32 exec_lo, exec_lo, s0
	v_or_b32_e32 v5, 0x8700, v0
                                        ; implicit-def: $vgpr27_vgpr28
	s_delay_alu instid0(VALU_DEP_1) | instskip(SKIP_1) | instid1(VALU_DEP_1)
	v_cmp_gt_u32_e64 s1, s44, v5
	s_wait_alu 0xf1ff
	v_writelane_b32 v255, s1, 14
	s_and_saveexec_b32 s0, s1
	s_cbranch_execz .LBB17_279
; %bb.278:
	global_load_b64 v[27:28], v[1:2], off offset:276480
	s_wait_loadcnt 0x0
	v_and_b32_e32 v28, 0x7fffffff, v28
.LBB17_279:
	s_wait_alu 0xfffe
	s_or_b32 exec_lo, exec_lo, s0
	v_or_b32_e32 v5, 0x8800, v0
                                        ; implicit-def: $vgpr29_vgpr30
	s_delay_alu instid0(VALU_DEP_1) | instskip(SKIP_1) | instid1(VALU_DEP_1)
	v_cmp_gt_u32_e64 s1, s44, v5
	s_wait_alu 0xf1ff
	v_writelane_b32 v255, s1, 15
	s_and_saveexec_b32 s0, s1
	s_cbranch_execz .LBB17_281
; %bb.280:
	global_load_b64 v[29:30], v[1:2], off offset:278528
	s_wait_loadcnt 0x0
	v_and_b32_e32 v30, 0x7fffffff, v30
.LBB17_281:
	s_wait_alu 0xfffe
	s_or_b32 exec_lo, exec_lo, s0
	v_or_b32_e32 v5, 0x8900, v0
                                        ; implicit-def: $vgpr31_vgpr32
	s_delay_alu instid0(VALU_DEP_1) | instskip(SKIP_1) | instid1(VALU_DEP_1)
	v_cmp_gt_u32_e64 s1, s44, v5
	s_wait_alu 0xf1ff
	v_writelane_b32 v255, s1, 16
	s_and_saveexec_b32 s0, s1
	s_cbranch_execz .LBB17_283
; %bb.282:
	global_load_b64 v[31:32], v[1:2], off offset:280576
	s_wait_loadcnt 0x0
	v_and_b32_e32 v32, 0x7fffffff, v32
.LBB17_283:
	s_wait_alu 0xfffe
	s_or_b32 exec_lo, exec_lo, s0
	v_or_b32_e32 v5, 0x8a00, v0
                                        ; implicit-def: $vgpr33_vgpr34
	s_delay_alu instid0(VALU_DEP_1) | instskip(SKIP_1) | instid1(VALU_DEP_1)
	v_cmp_gt_u32_e64 s1, s44, v5
	s_wait_alu 0xf1ff
	v_writelane_b32 v255, s1, 17
	s_and_saveexec_b32 s0, s1
	s_cbranch_execz .LBB17_285
; %bb.284:
	global_load_b64 v[33:34], v[1:2], off offset:282624
	s_wait_loadcnt 0x0
	v_and_b32_e32 v34, 0x7fffffff, v34
.LBB17_285:
	s_wait_alu 0xfffe
	s_or_b32 exec_lo, exec_lo, s0
	v_or_b32_e32 v5, 0x8b00, v0
                                        ; implicit-def: $vgpr35_vgpr36
	s_delay_alu instid0(VALU_DEP_1) | instskip(SKIP_1) | instid1(VALU_DEP_1)
	v_cmp_gt_u32_e64 s1, s44, v5
	s_wait_alu 0xf1ff
	v_writelane_b32 v255, s1, 18
	s_and_saveexec_b32 s0, s1
	s_cbranch_execz .LBB17_287
; %bb.286:
	global_load_b64 v[35:36], v[1:2], off offset:284672
	s_wait_loadcnt 0x0
	v_and_b32_e32 v36, 0x7fffffff, v36
.LBB17_287:
	s_wait_alu 0xfffe
	s_or_b32 exec_lo, exec_lo, s0
	v_or_b32_e32 v5, 0x8c00, v0
                                        ; implicit-def: $vgpr37_vgpr38
	s_delay_alu instid0(VALU_DEP_1) | instskip(SKIP_1) | instid1(VALU_DEP_1)
	v_cmp_gt_u32_e64 s1, s44, v5
	s_wait_alu 0xf1ff
	v_writelane_b32 v255, s1, 19
	s_and_saveexec_b32 s0, s1
	s_cbranch_execz .LBB17_289
; %bb.288:
	global_load_b64 v[37:38], v[1:2], off offset:286720
	s_wait_loadcnt 0x0
	v_and_b32_e32 v38, 0x7fffffff, v38
.LBB17_289:
	s_wait_alu 0xfffe
	s_or_b32 exec_lo, exec_lo, s0
	v_or_b32_e32 v5, 0x8d00, v0
                                        ; implicit-def: $vgpr39_vgpr40
	s_delay_alu instid0(VALU_DEP_1) | instskip(SKIP_1) | instid1(VALU_DEP_1)
	v_cmp_gt_u32_e64 s1, s44, v5
	s_wait_alu 0xf1ff
	v_writelane_b32 v255, s1, 20
	s_and_saveexec_b32 s0, s1
	s_cbranch_execz .LBB17_291
; %bb.290:
	global_load_b64 v[39:40], v[1:2], off offset:288768
	s_wait_loadcnt 0x0
	v_and_b32_e32 v40, 0x7fffffff, v40
.LBB17_291:
	s_wait_alu 0xfffe
	s_or_b32 exec_lo, exec_lo, s0
	v_or_b32_e32 v5, 0x8e00, v0
                                        ; implicit-def: $vgpr41_vgpr42
	s_delay_alu instid0(VALU_DEP_1) | instskip(SKIP_1) | instid1(VALU_DEP_1)
	v_cmp_gt_u32_e64 s1, s44, v5
	s_wait_alu 0xf1ff
	v_writelane_b32 v255, s1, 21
	s_and_saveexec_b32 s0, s1
	s_cbranch_execz .LBB17_293
; %bb.292:
	global_load_b64 v[41:42], v[1:2], off offset:290816
	s_wait_loadcnt 0x0
	v_and_b32_e32 v42, 0x7fffffff, v42
.LBB17_293:
	s_wait_alu 0xfffe
	s_or_b32 exec_lo, exec_lo, s0
	v_or_b32_e32 v5, 0x8f00, v0
                                        ; implicit-def: $vgpr43_vgpr44
	s_delay_alu instid0(VALU_DEP_1) | instskip(SKIP_1) | instid1(VALU_DEP_1)
	v_cmp_gt_u32_e64 s1, s44, v5
	s_wait_alu 0xf1ff
	v_writelane_b32 v255, s1, 22
	s_and_saveexec_b32 s0, s1
	s_cbranch_execz .LBB17_295
; %bb.294:
	global_load_b64 v[43:44], v[1:2], off offset:292864
	s_wait_loadcnt 0x0
	v_and_b32_e32 v44, 0x7fffffff, v44
.LBB17_295:
	s_wait_alu 0xfffe
	s_or_b32 exec_lo, exec_lo, s0
	v_or_b32_e32 v5, 0x9000, v0
                                        ; implicit-def: $vgpr45_vgpr46
	s_delay_alu instid0(VALU_DEP_1) | instskip(SKIP_1) | instid1(VALU_DEP_1)
	v_cmp_gt_u32_e64 s1, s44, v5
	s_wait_alu 0xf1ff
	v_writelane_b32 v255, s1, 23
	s_and_saveexec_b32 s0, s1
	s_cbranch_execz .LBB17_297
; %bb.296:
	global_load_b64 v[45:46], v[1:2], off offset:294912
	s_wait_loadcnt 0x0
	v_and_b32_e32 v46, 0x7fffffff, v46
.LBB17_297:
	s_wait_alu 0xfffe
	s_or_b32 exec_lo, exec_lo, s0
	v_or_b32_e32 v5, 0x9100, v0
                                        ; implicit-def: $vgpr47_vgpr48
	s_delay_alu instid0(VALU_DEP_1) | instskip(SKIP_1) | instid1(VALU_DEP_1)
	v_cmp_gt_u32_e64 s1, s44, v5
	s_wait_alu 0xf1ff
	v_writelane_b32 v255, s1, 24
	s_and_saveexec_b32 s0, s1
	s_cbranch_execz .LBB17_299
; %bb.298:
	global_load_b64 v[47:48], v[1:2], off offset:296960
	s_wait_loadcnt 0x0
	v_and_b32_e32 v48, 0x7fffffff, v48
.LBB17_299:
	s_wait_alu 0xfffe
	s_or_b32 exec_lo, exec_lo, s0
	v_or_b32_e32 v5, 0x9200, v0
                                        ; implicit-def: $vgpr49_vgpr50
	s_delay_alu instid0(VALU_DEP_1) | instskip(SKIP_1) | instid1(VALU_DEP_1)
	v_cmp_gt_u32_e64 s1, s44, v5
	s_wait_alu 0xf1ff
	v_writelane_b32 v255, s1, 25
	s_and_saveexec_b32 s0, s1
	s_cbranch_execz .LBB17_301
; %bb.300:
	global_load_b64 v[49:50], v[1:2], off offset:299008
	s_wait_loadcnt 0x0
	v_and_b32_e32 v50, 0x7fffffff, v50
.LBB17_301:
	s_wait_alu 0xfffe
	s_or_b32 exec_lo, exec_lo, s0
	v_or_b32_e32 v5, 0x9300, v0
                                        ; implicit-def: $vgpr51_vgpr52
	s_delay_alu instid0(VALU_DEP_1) | instskip(SKIP_1) | instid1(VALU_DEP_1)
	v_cmp_gt_u32_e64 s1, s44, v5
	s_wait_alu 0xf1ff
	v_writelane_b32 v255, s1, 26
	s_and_saveexec_b32 s0, s1
	s_cbranch_execz .LBB17_303
; %bb.302:
	global_load_b64 v[51:52], v[1:2], off offset:301056
	s_wait_loadcnt 0x0
	v_and_b32_e32 v52, 0x7fffffff, v52
.LBB17_303:
	s_wait_alu 0xfffe
	s_or_b32 exec_lo, exec_lo, s0
	v_or_b32_e32 v5, 0x9400, v0
                                        ; implicit-def: $vgpr53_vgpr54
	s_delay_alu instid0(VALU_DEP_1) | instskip(SKIP_1) | instid1(VALU_DEP_1)
	v_cmp_gt_u32_e64 s1, s44, v5
	s_wait_alu 0xf1ff
	v_writelane_b32 v255, s1, 27
	s_and_saveexec_b32 s0, s1
	s_cbranch_execz .LBB17_305
; %bb.304:
	global_load_b64 v[53:54], v[1:2], off offset:303104
	s_wait_loadcnt 0x0
	v_and_b32_e32 v54, 0x7fffffff, v54
.LBB17_305:
	s_wait_alu 0xfffe
	s_or_b32 exec_lo, exec_lo, s0
	v_or_b32_e32 v5, 0x9500, v0
                                        ; implicit-def: $vgpr55_vgpr56
	s_delay_alu instid0(VALU_DEP_1) | instskip(SKIP_1) | instid1(VALU_DEP_1)
	v_cmp_gt_u32_e64 s1, s44, v5
	s_wait_alu 0xf1ff
	v_writelane_b32 v255, s1, 28
	s_and_saveexec_b32 s0, s1
	s_cbranch_execz .LBB17_307
; %bb.306:
	global_load_b64 v[55:56], v[1:2], off offset:305152
	s_wait_loadcnt 0x0
	v_and_b32_e32 v56, 0x7fffffff, v56
.LBB17_307:
	s_wait_alu 0xfffe
	s_or_b32 exec_lo, exec_lo, s0
	v_or_b32_e32 v5, 0x9600, v0
                                        ; implicit-def: $vgpr57_vgpr58
	s_delay_alu instid0(VALU_DEP_1) | instskip(SKIP_1) | instid1(VALU_DEP_1)
	v_cmp_gt_u32_e64 s1, s44, v5
	s_wait_alu 0xf1ff
	v_writelane_b32 v255, s1, 29
	s_and_saveexec_b32 s0, s1
	s_cbranch_execz .LBB17_309
; %bb.308:
	global_load_b64 v[57:58], v[1:2], off offset:307200
	s_wait_loadcnt 0x0
	v_and_b32_e32 v58, 0x7fffffff, v58
.LBB17_309:
	s_wait_alu 0xfffe
	s_or_b32 exec_lo, exec_lo, s0
	v_or_b32_e32 v5, 0x9700, v0
                                        ; implicit-def: $vgpr59_vgpr60
	s_delay_alu instid0(VALU_DEP_1) | instskip(SKIP_1) | instid1(VALU_DEP_1)
	v_cmp_gt_u32_e64 s1, s44, v5
	s_wait_alu 0xf1ff
	v_writelane_b32 v255, s1, 30
	s_and_saveexec_b32 s0, s1
	s_cbranch_execz .LBB17_311
; %bb.310:
	global_load_b64 v[59:60], v[1:2], off offset:309248
	s_wait_loadcnt 0x0
	v_and_b32_e32 v60, 0x7fffffff, v60
.LBB17_311:
	s_wait_alu 0xfffe
	s_or_b32 exec_lo, exec_lo, s0
	v_or_b32_e32 v5, 0x9800, v0
                                        ; implicit-def: $vgpr61_vgpr62
	s_delay_alu instid0(VALU_DEP_1) | instskip(SKIP_1) | instid1(VALU_DEP_1)
	v_cmp_gt_u32_e64 s1, s44, v5
	s_wait_alu 0xf1ff
	v_writelane_b32 v255, s1, 31
	s_and_saveexec_b32 s0, s1
	s_cbranch_execz .LBB17_313
; %bb.312:
	global_load_b64 v[61:62], v[1:2], off offset:311296
	s_wait_loadcnt 0x0
	v_and_b32_e32 v62, 0x7fffffff, v62
.LBB17_313:
	s_wait_alu 0xfffe
	s_or_b32 exec_lo, exec_lo, s0
	v_or_b32_e32 v5, 0x9900, v0
                                        ; implicit-def: $vgpr63_vgpr64
	s_delay_alu instid0(VALU_DEP_1) | instskip(NEXT) | instid1(VALU_DEP_1)
	v_cmp_gt_u32_e64 s47, s44, v5
	s_and_saveexec_b32 s0, s47
	s_cbranch_execz .LBB17_315
; %bb.314:
	global_load_b64 v[63:64], v[1:2], off offset:313344
	s_wait_loadcnt 0x0
	v_and_b32_e32 v64, 0x7fffffff, v64
.LBB17_315:
	s_wait_alu 0xfffe
	s_or_b32 exec_lo, exec_lo, s0
	v_or_b32_e32 v5, 0x9a00, v0
                                        ; implicit-def: $vgpr65_vgpr66
	s_delay_alu instid0(VALU_DEP_1) | instskip(NEXT) | instid1(VALU_DEP_1)
	v_cmp_gt_u32_e64 s48, s44, v5
	s_and_saveexec_b32 s0, s48
	s_cbranch_execz .LBB17_317
; %bb.316:
	global_load_b64 v[65:66], v[1:2], off offset:315392
	s_wait_loadcnt 0x0
	v_and_b32_e32 v66, 0x7fffffff, v66
.LBB17_317:
	s_wait_alu 0xfffe
	s_or_b32 exec_lo, exec_lo, s0
	v_or_b32_e32 v5, 0x9b00, v0
                                        ; implicit-def: $vgpr67_vgpr68
	s_delay_alu instid0(VALU_DEP_1) | instskip(NEXT) | instid1(VALU_DEP_1)
	v_cmp_gt_u32_e64 s49, s44, v5
	s_and_saveexec_b32 s0, s49
	s_cbranch_execz .LBB17_319
; %bb.318:
	global_load_b64 v[67:68], v[1:2], off offset:317440
	s_wait_loadcnt 0x0
	v_and_b32_e32 v68, 0x7fffffff, v68
.LBB17_319:
	s_wait_alu 0xfffe
	s_or_b32 exec_lo, exec_lo, s0
	v_or_b32_e32 v5, 0x9c00, v0
                                        ; implicit-def: $vgpr69_vgpr70
	s_delay_alu instid0(VALU_DEP_1) | instskip(NEXT) | instid1(VALU_DEP_1)
	v_cmp_gt_u32_e64 s50, s44, v5
	s_and_saveexec_b32 s0, s50
	s_cbranch_execz .LBB17_321
; %bb.320:
	global_load_b64 v[69:70], v[1:2], off offset:319488
	s_wait_loadcnt 0x0
	v_and_b32_e32 v70, 0x7fffffff, v70
.LBB17_321:
	s_wait_alu 0xfffe
	s_or_b32 exec_lo, exec_lo, s0
	v_or_b32_e32 v5, 0x9d00, v0
                                        ; implicit-def: $vgpr71_vgpr72
	s_delay_alu instid0(VALU_DEP_1) | instskip(NEXT) | instid1(VALU_DEP_1)
	v_cmp_gt_u32_e64 s51, s44, v5
	s_and_saveexec_b32 s0, s51
	s_cbranch_execz .LBB17_323
; %bb.322:
	global_load_b64 v[71:72], v[1:2], off offset:321536
	s_wait_loadcnt 0x0
	v_and_b32_e32 v72, 0x7fffffff, v72
.LBB17_323:
	s_wait_alu 0xfffe
	s_or_b32 exec_lo, exec_lo, s0
	v_or_b32_e32 v5, 0x9e00, v0
                                        ; implicit-def: $vgpr73_vgpr74
	s_delay_alu instid0(VALU_DEP_1) | instskip(NEXT) | instid1(VALU_DEP_1)
	v_cmp_gt_u32_e64 s52, s44, v5
	s_and_saveexec_b32 s0, s52
	s_cbranch_execz .LBB17_325
; %bb.324:
	global_load_b64 v[73:74], v[1:2], off offset:323584
	s_wait_loadcnt 0x0
	v_and_b32_e32 v74, 0x7fffffff, v74
.LBB17_325:
	s_wait_alu 0xfffe
	s_or_b32 exec_lo, exec_lo, s0
	v_or_b32_e32 v5, 0x9f00, v0
                                        ; implicit-def: $vgpr75_vgpr76
	s_delay_alu instid0(VALU_DEP_1) | instskip(NEXT) | instid1(VALU_DEP_1)
	v_cmp_gt_u32_e64 s53, s44, v5
	s_and_saveexec_b32 s0, s53
	s_cbranch_execz .LBB17_327
; %bb.326:
	global_load_b64 v[75:76], v[1:2], off offset:325632
	s_wait_loadcnt 0x0
	v_and_b32_e32 v76, 0x7fffffff, v76
.LBB17_327:
	s_wait_alu 0xfffe
	s_or_b32 exec_lo, exec_lo, s0
	v_or_b32_e32 v5, 0xa000, v0
                                        ; implicit-def: $vgpr77_vgpr78
	s_delay_alu instid0(VALU_DEP_1) | instskip(NEXT) | instid1(VALU_DEP_1)
	v_cmp_gt_u32_e64 s54, s44, v5
	s_and_saveexec_b32 s0, s54
	s_cbranch_execz .LBB17_329
; %bb.328:
	global_load_b64 v[77:78], v[1:2], off offset:327680
	s_wait_loadcnt 0x0
	v_and_b32_e32 v78, 0x7fffffff, v78
.LBB17_329:
	s_wait_alu 0xfffe
	s_or_b32 exec_lo, exec_lo, s0
	v_or_b32_e32 v5, 0xa100, v0
                                        ; implicit-def: $vgpr79_vgpr80
	s_delay_alu instid0(VALU_DEP_1) | instskip(NEXT) | instid1(VALU_DEP_1)
	v_cmp_gt_u32_e64 s55, s44, v5
	s_and_saveexec_b32 s0, s55
	s_cbranch_execz .LBB17_331
; %bb.330:
	global_load_b64 v[79:80], v[1:2], off offset:329728
	s_wait_loadcnt 0x0
	v_and_b32_e32 v80, 0x7fffffff, v80
.LBB17_331:
	s_wait_alu 0xfffe
	s_or_b32 exec_lo, exec_lo, s0
	v_or_b32_e32 v5, 0xa200, v0
                                        ; implicit-def: $vgpr81_vgpr82
	s_delay_alu instid0(VALU_DEP_1) | instskip(NEXT) | instid1(VALU_DEP_1)
	v_cmp_gt_u32_e64 s56, s44, v5
	s_and_saveexec_b32 s0, s56
	s_cbranch_execz .LBB17_333
; %bb.332:
	global_load_b64 v[81:82], v[1:2], off offset:331776
	s_wait_loadcnt 0x0
	v_and_b32_e32 v82, 0x7fffffff, v82
.LBB17_333:
	s_wait_alu 0xfffe
	s_or_b32 exec_lo, exec_lo, s0
	v_or_b32_e32 v5, 0xa300, v0
                                        ; implicit-def: $vgpr83_vgpr84
	s_delay_alu instid0(VALU_DEP_1) | instskip(NEXT) | instid1(VALU_DEP_1)
	v_cmp_gt_u32_e64 s57, s44, v5
	s_and_saveexec_b32 s0, s57
	s_cbranch_execz .LBB17_335
; %bb.334:
	global_load_b64 v[83:84], v[1:2], off offset:333824
	s_wait_loadcnt 0x0
	v_and_b32_e32 v84, 0x7fffffff, v84
.LBB17_335:
	s_wait_alu 0xfffe
	s_or_b32 exec_lo, exec_lo, s0
	v_or_b32_e32 v5, 0xa400, v0
                                        ; implicit-def: $vgpr85_vgpr86
	s_delay_alu instid0(VALU_DEP_1) | instskip(NEXT) | instid1(VALU_DEP_1)
	v_cmp_gt_u32_e64 s58, s44, v5
	s_and_saveexec_b32 s0, s58
	s_cbranch_execz .LBB17_337
; %bb.336:
	global_load_b64 v[85:86], v[1:2], off offset:335872
	s_wait_loadcnt 0x0
	v_and_b32_e32 v86, 0x7fffffff, v86
.LBB17_337:
	s_wait_alu 0xfffe
	s_or_b32 exec_lo, exec_lo, s0
	v_or_b32_e32 v5, 0xa500, v0
                                        ; implicit-def: $vgpr87_vgpr88
	s_delay_alu instid0(VALU_DEP_1) | instskip(NEXT) | instid1(VALU_DEP_1)
	v_cmp_gt_u32_e64 s59, s44, v5
	s_and_saveexec_b32 s0, s59
	s_cbranch_execz .LBB17_339
; %bb.338:
	global_load_b64 v[87:88], v[1:2], off offset:337920
	s_wait_loadcnt 0x0
	v_and_b32_e32 v88, 0x7fffffff, v88
.LBB17_339:
	s_wait_alu 0xfffe
	s_or_b32 exec_lo, exec_lo, s0
	v_or_b32_e32 v5, 0xa600, v0
                                        ; implicit-def: $vgpr89_vgpr90
	s_delay_alu instid0(VALU_DEP_1) | instskip(NEXT) | instid1(VALU_DEP_1)
	v_cmp_gt_u32_e64 s60, s44, v5
	s_and_saveexec_b32 s0, s60
	s_cbranch_execz .LBB17_341
; %bb.340:
	global_load_b64 v[89:90], v[1:2], off offset:339968
	s_wait_loadcnt 0x0
	v_and_b32_e32 v90, 0x7fffffff, v90
.LBB17_341:
	s_wait_alu 0xfffe
	s_or_b32 exec_lo, exec_lo, s0
	v_or_b32_e32 v5, 0xa700, v0
                                        ; implicit-def: $vgpr91_vgpr92
	s_delay_alu instid0(VALU_DEP_1) | instskip(NEXT) | instid1(VALU_DEP_1)
	v_cmp_gt_u32_e64 s61, s44, v5
	s_and_saveexec_b32 s0, s61
	s_cbranch_execz .LBB17_343
; %bb.342:
	global_load_b64 v[91:92], v[1:2], off offset:342016
	s_wait_loadcnt 0x0
	v_and_b32_e32 v92, 0x7fffffff, v92
.LBB17_343:
	s_wait_alu 0xfffe
	s_or_b32 exec_lo, exec_lo, s0
	v_or_b32_e32 v5, 0xa800, v0
                                        ; implicit-def: $vgpr93_vgpr94
	s_delay_alu instid0(VALU_DEP_1) | instskip(NEXT) | instid1(VALU_DEP_1)
	v_cmp_gt_u32_e64 s62, s44, v5
	s_and_saveexec_b32 s0, s62
	s_cbranch_execz .LBB17_345
; %bb.344:
	global_load_b64 v[93:94], v[1:2], off offset:344064
	s_wait_loadcnt 0x0
	v_and_b32_e32 v94, 0x7fffffff, v94
.LBB17_345:
	s_wait_alu 0xfffe
	s_or_b32 exec_lo, exec_lo, s0
	v_or_b32_e32 v5, 0xa900, v0
                                        ; implicit-def: $vgpr95_vgpr96
	s_delay_alu instid0(VALU_DEP_1) | instskip(NEXT) | instid1(VALU_DEP_1)
	v_cmp_gt_u32_e64 s63, s44, v5
	s_and_saveexec_b32 s0, s63
	s_cbranch_execz .LBB17_347
; %bb.346:
	global_load_b64 v[95:96], v[1:2], off offset:346112
	s_wait_loadcnt 0x0
	v_and_b32_e32 v96, 0x7fffffff, v96
.LBB17_347:
	s_wait_alu 0xfffe
	s_or_b32 exec_lo, exec_lo, s0
	v_or_b32_e32 v5, 0xaa00, v0
                                        ; implicit-def: $vgpr97_vgpr98
	s_delay_alu instid0(VALU_DEP_1) | instskip(NEXT) | instid1(VALU_DEP_1)
	v_cmp_gt_u32_e64 s64, s44, v5
	s_and_saveexec_b32 s0, s64
	s_cbranch_execz .LBB17_349
; %bb.348:
	global_load_b64 v[97:98], v[1:2], off offset:348160
	s_wait_loadcnt 0x0
	v_and_b32_e32 v98, 0x7fffffff, v98
.LBB17_349:
	s_wait_alu 0xfffe
	s_or_b32 exec_lo, exec_lo, s0
	v_or_b32_e32 v5, 0xab00, v0
                                        ; implicit-def: $vgpr99_vgpr100
	s_delay_alu instid0(VALU_DEP_1) | instskip(NEXT) | instid1(VALU_DEP_1)
	v_cmp_gt_u32_e64 s65, s44, v5
	s_and_saveexec_b32 s0, s65
	s_cbranch_execz .LBB17_351
; %bb.350:
	global_load_b64 v[99:100], v[1:2], off offset:350208
	s_wait_loadcnt 0x0
	v_and_b32_e32 v100, 0x7fffffff, v100
.LBB17_351:
	s_wait_alu 0xfffe
	s_or_b32 exec_lo, exec_lo, s0
	v_or_b32_e32 v5, 0xac00, v0
                                        ; implicit-def: $vgpr101_vgpr102
	s_delay_alu instid0(VALU_DEP_1) | instskip(NEXT) | instid1(VALU_DEP_1)
	v_cmp_gt_u32_e64 s66, s44, v5
	s_and_saveexec_b32 s0, s66
	s_cbranch_execz .LBB17_353
; %bb.352:
	global_load_b64 v[101:102], v[1:2], off offset:352256
	s_wait_loadcnt 0x0
	v_and_b32_e32 v102, 0x7fffffff, v102
.LBB17_353:
	s_wait_alu 0xfffe
	s_or_b32 exec_lo, exec_lo, s0
	v_or_b32_e32 v5, 0xad00, v0
                                        ; implicit-def: $vgpr103_vgpr104
	s_delay_alu instid0(VALU_DEP_1) | instskip(NEXT) | instid1(VALU_DEP_1)
	v_cmp_gt_u32_e64 s67, s44, v5
	s_and_saveexec_b32 s0, s67
	s_cbranch_execz .LBB17_355
; %bb.354:
	global_load_b64 v[103:104], v[1:2], off offset:354304
	s_wait_loadcnt 0x0
	v_and_b32_e32 v104, 0x7fffffff, v104
.LBB17_355:
	s_wait_alu 0xfffe
	s_or_b32 exec_lo, exec_lo, s0
	v_or_b32_e32 v5, 0xae00, v0
                                        ; implicit-def: $vgpr105_vgpr106
	s_delay_alu instid0(VALU_DEP_1) | instskip(NEXT) | instid1(VALU_DEP_1)
	v_cmp_gt_u32_e64 s68, s44, v5
	s_and_saveexec_b32 s0, s68
	s_cbranch_execz .LBB17_357
; %bb.356:
	global_load_b64 v[105:106], v[1:2], off offset:356352
	s_wait_loadcnt 0x0
	v_and_b32_e32 v106, 0x7fffffff, v106
.LBB17_357:
	s_wait_alu 0xfffe
	s_or_b32 exec_lo, exec_lo, s0
	v_or_b32_e32 v5, 0xaf00, v0
                                        ; implicit-def: $vgpr107_vgpr108
	s_delay_alu instid0(VALU_DEP_1) | instskip(NEXT) | instid1(VALU_DEP_1)
	v_cmp_gt_u32_e64 s69, s44, v5
	s_and_saveexec_b32 s0, s69
	s_cbranch_execz .LBB17_359
; %bb.358:
	global_load_b64 v[107:108], v[1:2], off offset:358400
	s_wait_loadcnt 0x0
	v_and_b32_e32 v108, 0x7fffffff, v108
.LBB17_359:
	s_wait_alu 0xfffe
	s_or_b32 exec_lo, exec_lo, s0
	v_or_b32_e32 v5, 0xb000, v0
                                        ; implicit-def: $vgpr109_vgpr110
	s_delay_alu instid0(VALU_DEP_1) | instskip(NEXT) | instid1(VALU_DEP_1)
	v_cmp_gt_u32_e64 s70, s44, v5
	s_and_saveexec_b32 s0, s70
	s_cbranch_execz .LBB17_361
; %bb.360:
	global_load_b64 v[109:110], v[1:2], off offset:360448
	s_wait_loadcnt 0x0
	v_and_b32_e32 v110, 0x7fffffff, v110
.LBB17_361:
	s_wait_alu 0xfffe
	s_or_b32 exec_lo, exec_lo, s0
	v_or_b32_e32 v5, 0xb100, v0
                                        ; implicit-def: $vgpr111_vgpr112
	s_delay_alu instid0(VALU_DEP_1) | instskip(NEXT) | instid1(VALU_DEP_1)
	v_cmp_gt_u32_e64 s71, s44, v5
	s_and_saveexec_b32 s0, s71
	s_cbranch_execz .LBB17_363
; %bb.362:
	global_load_b64 v[111:112], v[1:2], off offset:362496
	s_wait_loadcnt 0x0
	v_and_b32_e32 v112, 0x7fffffff, v112
.LBB17_363:
	s_wait_alu 0xfffe
	s_or_b32 exec_lo, exec_lo, s0
	v_or_b32_e32 v5, 0xb200, v0
                                        ; implicit-def: $vgpr113_vgpr114
	s_delay_alu instid0(VALU_DEP_1) | instskip(NEXT) | instid1(VALU_DEP_1)
	v_cmp_gt_u32_e64 s72, s44, v5
	s_and_saveexec_b32 s0, s72
	s_cbranch_execz .LBB17_365
; %bb.364:
	global_load_b64 v[113:114], v[1:2], off offset:364544
	s_wait_loadcnt 0x0
	v_and_b32_e32 v114, 0x7fffffff, v114
.LBB17_365:
	s_wait_alu 0xfffe
	s_or_b32 exec_lo, exec_lo, s0
	v_or_b32_e32 v5, 0xb300, v0
                                        ; implicit-def: $vgpr115_vgpr116
	s_delay_alu instid0(VALU_DEP_1) | instskip(NEXT) | instid1(VALU_DEP_1)
	v_cmp_gt_u32_e64 s73, s44, v5
	s_and_saveexec_b32 s0, s73
	s_cbranch_execz .LBB17_367
; %bb.366:
	global_load_b64 v[115:116], v[1:2], off offset:366592
	s_wait_loadcnt 0x0
	v_and_b32_e32 v116, 0x7fffffff, v116
.LBB17_367:
	s_wait_alu 0xfffe
	s_or_b32 exec_lo, exec_lo, s0
	v_or_b32_e32 v5, 0xb400, v0
                                        ; implicit-def: $vgpr117_vgpr118
	s_delay_alu instid0(VALU_DEP_1) | instskip(NEXT) | instid1(VALU_DEP_1)
	v_cmp_gt_u32_e64 s74, s44, v5
	s_and_saveexec_b32 s0, s74
	s_cbranch_execz .LBB17_369
; %bb.368:
	global_load_b64 v[117:118], v[1:2], off offset:368640
	s_wait_loadcnt 0x0
	v_and_b32_e32 v118, 0x7fffffff, v118
.LBB17_369:
	s_wait_alu 0xfffe
	s_or_b32 exec_lo, exec_lo, s0
	v_or_b32_e32 v5, 0xb500, v0
                                        ; implicit-def: $vgpr119_vgpr120
	s_delay_alu instid0(VALU_DEP_1) | instskip(NEXT) | instid1(VALU_DEP_1)
	v_cmp_gt_u32_e64 s75, s44, v5
	s_and_saveexec_b32 s0, s75
	s_cbranch_execz .LBB17_371
; %bb.370:
	global_load_b64 v[119:120], v[1:2], off offset:370688
	s_wait_loadcnt 0x0
	v_and_b32_e32 v120, 0x7fffffff, v120
.LBB17_371:
	s_wait_alu 0xfffe
	s_or_b32 exec_lo, exec_lo, s0
	v_or_b32_e32 v5, 0xb600, v0
                                        ; implicit-def: $vgpr121_vgpr122
	s_delay_alu instid0(VALU_DEP_1) | instskip(NEXT) | instid1(VALU_DEP_1)
	v_cmp_gt_u32_e64 s76, s44, v5
	s_and_saveexec_b32 s0, s76
	s_cbranch_execz .LBB17_373
; %bb.372:
	global_load_b64 v[121:122], v[1:2], off offset:372736
	s_wait_loadcnt 0x0
	v_and_b32_e32 v122, 0x7fffffff, v122
.LBB17_373:
	s_wait_alu 0xfffe
	s_or_b32 exec_lo, exec_lo, s0
	v_or_b32_e32 v5, 0xb700, v0
                                        ; implicit-def: $vgpr123_vgpr124
	s_delay_alu instid0(VALU_DEP_1) | instskip(NEXT) | instid1(VALU_DEP_1)
	v_cmp_gt_u32_e64 s77, s44, v5
	s_and_saveexec_b32 s0, s77
	s_cbranch_execz .LBB17_375
; %bb.374:
	global_load_b64 v[123:124], v[1:2], off offset:374784
	s_wait_loadcnt 0x0
	v_and_b32_e32 v124, 0x7fffffff, v124
.LBB17_375:
	s_wait_alu 0xfffe
	s_or_b32 exec_lo, exec_lo, s0
	v_or_b32_e32 v5, 0xb800, v0
                                        ; implicit-def: $vgpr125_vgpr126
	s_delay_alu instid0(VALU_DEP_1) | instskip(NEXT) | instid1(VALU_DEP_1)
	v_cmp_gt_u32_e64 s78, s44, v5
	s_and_saveexec_b32 s0, s78
	s_cbranch_execz .LBB17_377
; %bb.376:
	global_load_b64 v[125:126], v[1:2], off offset:376832
	s_wait_loadcnt 0x0
	v_and_b32_e32 v126, 0x7fffffff, v126
.LBB17_377:
	s_wait_alu 0xfffe
	s_or_b32 exec_lo, exec_lo, s0
	v_or_b32_e32 v5, 0xb900, v0
                                        ; implicit-def: $vgpr127_vgpr128
	s_delay_alu instid0(VALU_DEP_1) | instskip(NEXT) | instid1(VALU_DEP_1)
	v_cmp_gt_u32_e64 s79, s44, v5
	s_and_saveexec_b32 s0, s79
	s_cbranch_execz .LBB17_379
; %bb.378:
	global_load_b64 v[127:128], v[1:2], off offset:378880
	s_wait_loadcnt 0x0
	v_and_b32_e32 v128, 0x7fffffff, v128
.LBB17_379:
	s_wait_alu 0xfffe
	s_or_b32 exec_lo, exec_lo, s0
	v_or_b32_e32 v5, 0xba00, v0
                                        ; implicit-def: $vgpr129_vgpr130
	s_delay_alu instid0(VALU_DEP_1) | instskip(NEXT) | instid1(VALU_DEP_1)
	v_cmp_gt_u32_e64 s80, s44, v5
	s_and_saveexec_b32 s0, s80
	s_cbranch_execz .LBB17_381
; %bb.380:
	global_load_b64 v[129:130], v[1:2], off offset:380928
	s_wait_loadcnt 0x0
	v_and_b32_e32 v130, 0x7fffffff, v130
.LBB17_381:
	s_wait_alu 0xfffe
	s_or_b32 exec_lo, exec_lo, s0
	v_or_b32_e32 v5, 0xbb00, v0
                                        ; implicit-def: $vgpr131_vgpr132
	s_delay_alu instid0(VALU_DEP_1) | instskip(NEXT) | instid1(VALU_DEP_1)
	v_cmp_gt_u32_e64 s81, s44, v5
	s_and_saveexec_b32 s0, s81
	s_cbranch_execz .LBB17_383
; %bb.382:
	global_load_b64 v[131:132], v[1:2], off offset:382976
	s_wait_loadcnt 0x0
	v_and_b32_e32 v132, 0x7fffffff, v132
.LBB17_383:
	s_wait_alu 0xfffe
	s_or_b32 exec_lo, exec_lo, s0
	v_or_b32_e32 v5, 0xbc00, v0
                                        ; implicit-def: $vgpr133_vgpr134
	s_delay_alu instid0(VALU_DEP_1) | instskip(NEXT) | instid1(VALU_DEP_1)
	v_cmp_gt_u32_e64 s82, s44, v5
	s_and_saveexec_b32 s0, s82
	s_cbranch_execz .LBB17_385
; %bb.384:
	global_load_b64 v[133:134], v[1:2], off offset:385024
	s_wait_loadcnt 0x0
	v_and_b32_e32 v134, 0x7fffffff, v134
.LBB17_385:
	s_wait_alu 0xfffe
	s_or_b32 exec_lo, exec_lo, s0
	v_or_b32_e32 v5, 0xbd00, v0
                                        ; implicit-def: $vgpr135_vgpr136
	s_delay_alu instid0(VALU_DEP_1) | instskip(NEXT) | instid1(VALU_DEP_1)
	v_cmp_gt_u32_e64 s83, s44, v5
	s_and_saveexec_b32 s0, s83
	s_cbranch_execz .LBB17_387
; %bb.386:
	global_load_b64 v[135:136], v[1:2], off offset:387072
	s_wait_loadcnt 0x0
	v_and_b32_e32 v136, 0x7fffffff, v136
.LBB17_387:
	s_wait_alu 0xfffe
	s_or_b32 exec_lo, exec_lo, s0
	v_or_b32_e32 v5, 0xbe00, v0
                                        ; implicit-def: $vgpr137_vgpr138
	s_delay_alu instid0(VALU_DEP_1) | instskip(NEXT) | instid1(VALU_DEP_1)
	v_cmp_gt_u32_e64 s84, s44, v5
	s_and_saveexec_b32 s0, s84
	s_cbranch_execz .LBB17_389
; %bb.388:
	global_load_b64 v[137:138], v[1:2], off offset:389120
	s_wait_loadcnt 0x0
	v_and_b32_e32 v138, 0x7fffffff, v138
.LBB17_389:
	s_wait_alu 0xfffe
	s_or_b32 exec_lo, exec_lo, s0
	v_or_b32_e32 v5, 0xbf00, v0
                                        ; implicit-def: $vgpr139_vgpr140
	s_delay_alu instid0(VALU_DEP_1) | instskip(NEXT) | instid1(VALU_DEP_1)
	v_cmp_gt_u32_e64 s85, s44, v5
	s_and_saveexec_b32 s0, s85
	s_cbranch_execz .LBB17_391
; %bb.390:
	global_load_b64 v[139:140], v[1:2], off offset:391168
	s_wait_loadcnt 0x0
	v_and_b32_e32 v140, 0x7fffffff, v140
.LBB17_391:
	s_wait_alu 0xfffe
	s_or_b32 exec_lo, exec_lo, s0
	v_or_b32_e32 v5, 0xc000, v0
                                        ; implicit-def: $vgpr141_vgpr142
	s_delay_alu instid0(VALU_DEP_1) | instskip(NEXT) | instid1(VALU_DEP_1)
	v_cmp_gt_u32_e64 s86, s44, v5
	s_and_saveexec_b32 s0, s86
	s_cbranch_execz .LBB17_393
; %bb.392:
	global_load_b64 v[141:142], v[1:2], off offset:393216
	s_wait_loadcnt 0x0
	v_and_b32_e32 v142, 0x7fffffff, v142
.LBB17_393:
	s_wait_alu 0xfffe
	s_or_b32 exec_lo, exec_lo, s0
	v_or_b32_e32 v5, 0xc100, v0
                                        ; implicit-def: $vgpr143_vgpr144
	s_delay_alu instid0(VALU_DEP_1) | instskip(NEXT) | instid1(VALU_DEP_1)
	v_cmp_gt_u32_e64 s87, s44, v5
	s_and_saveexec_b32 s0, s87
	s_cbranch_execz .LBB17_395
; %bb.394:
	global_load_b64 v[143:144], v[1:2], off offset:395264
	s_wait_loadcnt 0x0
	v_and_b32_e32 v144, 0x7fffffff, v144
.LBB17_395:
	s_wait_alu 0xfffe
	s_or_b32 exec_lo, exec_lo, s0
	v_or_b32_e32 v5, 0xc200, v0
                                        ; implicit-def: $vgpr145_vgpr146
	s_delay_alu instid0(VALU_DEP_1) | instskip(NEXT) | instid1(VALU_DEP_1)
	v_cmp_gt_u32_e64 s88, s44, v5
	s_and_saveexec_b32 s0, s88
	s_cbranch_execz .LBB17_397
; %bb.396:
	global_load_b64 v[145:146], v[1:2], off offset:397312
	s_wait_loadcnt 0x0
	v_and_b32_e32 v146, 0x7fffffff, v146
.LBB17_397:
	s_wait_alu 0xfffe
	s_or_b32 exec_lo, exec_lo, s0
	v_or_b32_e32 v5, 0xc300, v0
                                        ; implicit-def: $vgpr147_vgpr148
	s_delay_alu instid0(VALU_DEP_1) | instskip(NEXT) | instid1(VALU_DEP_1)
	v_cmp_gt_u32_e64 s89, s44, v5
	s_and_saveexec_b32 s0, s89
	s_cbranch_execz .LBB17_399
; %bb.398:
	global_load_b64 v[147:148], v[1:2], off offset:399360
	s_wait_loadcnt 0x0
	v_and_b32_e32 v148, 0x7fffffff, v148
.LBB17_399:
	s_wait_alu 0xfffe
	s_or_b32 exec_lo, exec_lo, s0
	v_or_b32_e32 v5, 0xc400, v0
                                        ; implicit-def: $vgpr149_vgpr150
	s_delay_alu instid0(VALU_DEP_1) | instskip(NEXT) | instid1(VALU_DEP_1)
	v_cmp_gt_u32_e64 s90, s44, v5
	s_and_saveexec_b32 s0, s90
	s_cbranch_execz .LBB17_401
; %bb.400:
	global_load_b64 v[149:150], v[1:2], off offset:401408
	s_wait_loadcnt 0x0
	v_and_b32_e32 v150, 0x7fffffff, v150
.LBB17_401:
	s_wait_alu 0xfffe
	s_or_b32 exec_lo, exec_lo, s0
	v_or_b32_e32 v5, 0xc500, v0
                                        ; implicit-def: $vgpr151_vgpr152
	s_delay_alu instid0(VALU_DEP_1) | instskip(NEXT) | instid1(VALU_DEP_1)
	v_cmp_gt_u32_e64 s91, s44, v5
	s_and_saveexec_b32 s0, s91
	s_cbranch_execz .LBB17_403
; %bb.402:
	global_load_b64 v[151:152], v[1:2], off offset:403456
	s_wait_loadcnt 0x0
	v_and_b32_e32 v152, 0x7fffffff, v152
.LBB17_403:
	s_wait_alu 0xfffe
	s_or_b32 exec_lo, exec_lo, s0
	v_or_b32_e32 v5, 0xc600, v0
                                        ; implicit-def: $vgpr153_vgpr154
	s_delay_alu instid0(VALU_DEP_1) | instskip(NEXT) | instid1(VALU_DEP_1)
	v_cmp_gt_u32_e64 s92, s44, v5
	s_and_saveexec_b32 s0, s92
	s_cbranch_execz .LBB17_405
; %bb.404:
	global_load_b64 v[153:154], v[1:2], off offset:405504
	s_wait_loadcnt 0x0
	v_and_b32_e32 v154, 0x7fffffff, v154
.LBB17_405:
	s_wait_alu 0xfffe
	s_or_b32 exec_lo, exec_lo, s0
	v_or_b32_e32 v5, 0xc700, v0
                                        ; implicit-def: $vgpr155_vgpr156
	s_delay_alu instid0(VALU_DEP_1) | instskip(NEXT) | instid1(VALU_DEP_1)
	v_cmp_gt_u32_e64 s93, s44, v5
	s_and_saveexec_b32 s0, s93
	s_cbranch_execz .LBB17_407
; %bb.406:
	global_load_b64 v[155:156], v[1:2], off offset:407552
	s_wait_loadcnt 0x0
	v_and_b32_e32 v156, 0x7fffffff, v156
.LBB17_407:
	s_wait_alu 0xfffe
	s_or_b32 exec_lo, exec_lo, s0
	v_or_b32_e32 v5, 0xc800, v0
                                        ; implicit-def: $vgpr157_vgpr158
	s_delay_alu instid0(VALU_DEP_1) | instskip(NEXT) | instid1(VALU_DEP_1)
	v_cmp_gt_u32_e64 s94, s44, v5
	s_and_saveexec_b32 s0, s94
	s_cbranch_execz .LBB17_409
; %bb.408:
	global_load_b64 v[157:158], v[1:2], off offset:409600
	s_wait_loadcnt 0x0
	v_and_b32_e32 v158, 0x7fffffff, v158
.LBB17_409:
	s_wait_alu 0xfffe
	s_or_b32 exec_lo, exec_lo, s0
	v_or_b32_e32 v5, 0xc900, v0
                                        ; implicit-def: $vgpr159_vgpr160
	s_delay_alu instid0(VALU_DEP_1) | instskip(NEXT) | instid1(VALU_DEP_1)
	v_cmp_gt_u32_e64 s95, s44, v5
	s_and_saveexec_b32 s0, s95
	s_cbranch_execz .LBB17_411
; %bb.410:
	global_load_b64 v[159:160], v[1:2], off offset:411648
	s_wait_loadcnt 0x0
	v_and_b32_e32 v160, 0x7fffffff, v160
.LBB17_411:
	s_wait_alu 0xfffe
	s_or_b32 exec_lo, exec_lo, s0
	v_or_b32_e32 v5, 0xca00, v0
                                        ; implicit-def: $vgpr161_vgpr162
	s_delay_alu instid0(VALU_DEP_1) | instskip(NEXT) | instid1(VALU_DEP_1)
	v_cmp_gt_u32_e64 s96, s44, v5
	s_and_saveexec_b32 s0, s96
	s_cbranch_execz .LBB17_413
; %bb.412:
	global_load_b64 v[161:162], v[1:2], off offset:413696
	s_wait_loadcnt 0x0
	v_and_b32_e32 v162, 0x7fffffff, v162
.LBB17_413:
	s_wait_alu 0xfffe
	s_or_b32 exec_lo, exec_lo, s0
	v_or_b32_e32 v5, 0xcb00, v0
                                        ; implicit-def: $vgpr163_vgpr164
	s_delay_alu instid0(VALU_DEP_1) | instskip(NEXT) | instid1(VALU_DEP_1)
	v_cmp_gt_u32_e64 s97, s44, v5
	s_and_saveexec_b32 s0, s97
	s_cbranch_execz .LBB17_415
; %bb.414:
	global_load_b64 v[163:164], v[1:2], off offset:415744
	s_wait_loadcnt 0x0
	v_and_b32_e32 v164, 0x7fffffff, v164
.LBB17_415:
	s_wait_alu 0xfffe
	s_or_b32 exec_lo, exec_lo, s0
	v_or_b32_e32 v5, 0xcc00, v0
                                        ; implicit-def: $vgpr165_vgpr166
	s_delay_alu instid0(VALU_DEP_1) | instskip(NEXT) | instid1(VALU_DEP_1)
	v_cmp_gt_u32_e64 s98, s44, v5
	s_and_saveexec_b32 s0, s98
	s_cbranch_execz .LBB17_417
; %bb.416:
	global_load_b64 v[165:166], v[1:2], off offset:417792
	s_wait_loadcnt 0x0
	v_and_b32_e32 v166, 0x7fffffff, v166
.LBB17_417:
	s_wait_alu 0xfffe
	s_or_b32 exec_lo, exec_lo, s0
	v_or_b32_e32 v5, 0xcd00, v0
                                        ; implicit-def: $vgpr167_vgpr168
	s_delay_alu instid0(VALU_DEP_1) | instskip(NEXT) | instid1(VALU_DEP_1)
	v_cmp_gt_u32_e64 s99, s44, v5
	s_and_saveexec_b32 s0, s99
	s_cbranch_execz .LBB17_419
; %bb.418:
	global_load_b64 v[167:168], v[1:2], off offset:419840
	s_wait_loadcnt 0x0
	v_and_b32_e32 v168, 0x7fffffff, v168
.LBB17_419:
	s_wait_alu 0xfffe
	s_or_b32 exec_lo, exec_lo, s0
	v_or_b32_e32 v5, 0xce00, v0
                                        ; implicit-def: $vgpr169_vgpr170
	s_delay_alu instid0(VALU_DEP_1) | instskip(NEXT) | instid1(VALU_DEP_1)
	v_cmp_gt_u32_e64 s100, s44, v5
	s_and_saveexec_b32 s0, s100
	s_cbranch_execz .LBB17_421
; %bb.420:
	global_load_b64 v[169:170], v[1:2], off offset:421888
	s_wait_loadcnt 0x0
	v_and_b32_e32 v170, 0x7fffffff, v170
.LBB17_421:
	s_wait_alu 0xfffe
	s_or_b32 exec_lo, exec_lo, s0
	v_or_b32_e32 v5, 0xcf00, v0
                                        ; implicit-def: $vgpr171_vgpr172
	s_delay_alu instid0(VALU_DEP_1) | instskip(NEXT) | instid1(VALU_DEP_1)
	v_cmp_gt_u32_e64 s101, s44, v5
	s_and_saveexec_b32 s0, s101
	s_cbranch_execz .LBB17_423
; %bb.422:
	global_load_b64 v[171:172], v[1:2], off offset:423936
	s_wait_loadcnt 0x0
	v_and_b32_e32 v172, 0x7fffffff, v172
.LBB17_423:
	s_wait_alu 0xfffe
	s_or_b32 exec_lo, exec_lo, s0
	v_or_b32_e32 v5, 0xd000, v0
                                        ; implicit-def: $vgpr173_vgpr174
	s_delay_alu instid0(VALU_DEP_1) | instskip(NEXT) | instid1(VALU_DEP_1)
	v_cmp_gt_u32_e64 s102, s44, v5
	s_and_saveexec_b32 s0, s102
	s_cbranch_execz .LBB17_425
; %bb.424:
	global_load_b64 v[173:174], v[1:2], off offset:425984
	s_wait_loadcnt 0x0
	v_and_b32_e32 v174, 0x7fffffff, v174
.LBB17_425:
	s_wait_alu 0xfffe
	s_or_b32 exec_lo, exec_lo, s0
	v_or_b32_e32 v5, 0xd100, v0
                                        ; implicit-def: $vgpr175_vgpr176
	s_delay_alu instid0(VALU_DEP_1) | instskip(NEXT) | instid1(VALU_DEP_1)
	v_cmp_gt_u32_e64 s103, s44, v5
	s_and_saveexec_b32 s0, s103
	s_cbranch_execz .LBB17_427
; %bb.426:
	global_load_b64 v[175:176], v[1:2], off offset:428032
	s_wait_loadcnt 0x0
	v_and_b32_e32 v176, 0x7fffffff, v176
.LBB17_427:
	s_wait_alu 0xfffe
	s_or_b32 exec_lo, exec_lo, s0
	v_or_b32_e32 v5, 0xd200, v0
                                        ; implicit-def: $vgpr177_vgpr178
	s_delay_alu instid0(VALU_DEP_1) | instskip(NEXT) | instid1(VALU_DEP_1)
	v_cmp_gt_u32_e64 s104, s44, v5
	s_and_saveexec_b32 s0, s104
	s_cbranch_execz .LBB17_429
; %bb.428:
	global_load_b64 v[177:178], v[1:2], off offset:430080
	s_wait_loadcnt 0x0
	v_and_b32_e32 v178, 0x7fffffff, v178
.LBB17_429:
	s_wait_alu 0xfffe
	s_or_b32 exec_lo, exec_lo, s0
	v_or_b32_e32 v5, 0xd300, v0
                                        ; implicit-def: $vgpr179_vgpr180
	s_delay_alu instid0(VALU_DEP_1) | instskip(NEXT) | instid1(VALU_DEP_1)
	v_cmp_gt_u32_e64 vcc_hi, s44, v5
	s_and_saveexec_b32 s0, vcc_hi
	s_cbranch_execz .LBB17_431
; %bb.430:
	global_load_b64 v[179:180], v[1:2], off offset:432128
	s_wait_loadcnt 0x0
	v_and_b32_e32 v180, 0x7fffffff, v180
.LBB17_431:
	s_wait_alu 0xfffe
	s_or_b32 exec_lo, exec_lo, s0
	v_or_b32_e32 v5, 0xd400, v0
                                        ; implicit-def: $vgpr181_vgpr182
	s_delay_alu instid0(VALU_DEP_1) | instskip(NEXT) | instid1(VALU_DEP_1)
	v_cmp_gt_u32_e64 s0, s44, v5
	s_and_saveexec_b32 s1, s0
	s_cbranch_execz .LBB17_433
; %bb.432:
	global_load_b64 v[181:182], v[1:2], off offset:434176
	s_wait_loadcnt 0x0
	v_and_b32_e32 v182, 0x7fffffff, v182
.LBB17_433:
	s_wait_alu 0xfffe
	s_or_b32 exec_lo, exec_lo, s1
	v_or_b32_e32 v5, 0xd500, v0
                                        ; implicit-def: $vgpr183_vgpr184
	s_delay_alu instid0(VALU_DEP_1) | instskip(NEXT) | instid1(VALU_DEP_1)
	v_cmp_gt_u32_e64 s1, s44, v5
	s_and_saveexec_b32 s2, s1
	s_cbranch_execz .LBB17_435
; %bb.434:
	global_load_b64 v[183:184], v[1:2], off offset:436224
	s_wait_loadcnt 0x0
	v_and_b32_e32 v184, 0x7fffffff, v184
.LBB17_435:
	s_wait_alu 0xfffe
	s_or_b32 exec_lo, exec_lo, s2
	v_or_b32_e32 v5, 0xd600, v0
                                        ; implicit-def: $vgpr185_vgpr186
	s_delay_alu instid0(VALU_DEP_1) | instskip(NEXT) | instid1(VALU_DEP_1)
	v_cmp_gt_u32_e64 s2, s44, v5
	s_and_saveexec_b32 s3, s2
	s_cbranch_execz .LBB17_437
; %bb.436:
	global_load_b64 v[185:186], v[1:2], off offset:438272
	s_wait_loadcnt 0x0
	v_and_b32_e32 v186, 0x7fffffff, v186
.LBB17_437:
	s_wait_alu 0xfffe
	s_or_b32 exec_lo, exec_lo, s3
	v_or_b32_e32 v5, 0xd700, v0
                                        ; implicit-def: $vgpr187_vgpr188
	s_delay_alu instid0(VALU_DEP_1) | instskip(NEXT) | instid1(VALU_DEP_1)
	v_cmp_gt_u32_e64 s3, s44, v5
	s_and_saveexec_b32 s4, s3
	s_cbranch_execz .LBB17_439
; %bb.438:
	global_load_b64 v[187:188], v[1:2], off offset:440320
	s_wait_loadcnt 0x0
	v_and_b32_e32 v188, 0x7fffffff, v188
.LBB17_439:
	s_or_b32 exec_lo, exec_lo, s4
	v_or_b32_e32 v5, 0xd800, v0
                                        ; implicit-def: $vgpr189_vgpr190
	s_delay_alu instid0(VALU_DEP_1) | instskip(NEXT) | instid1(VALU_DEP_1)
	v_cmp_gt_u32_e64 s4, s44, v5
	s_and_saveexec_b32 s5, s4
	s_cbranch_execz .LBB17_441
; %bb.440:
	global_load_b64 v[189:190], v[1:2], off offset:442368
	s_wait_loadcnt 0x0
	v_and_b32_e32 v190, 0x7fffffff, v190
.LBB17_441:
	s_or_b32 exec_lo, exec_lo, s5
	v_or_b32_e32 v5, 0xd900, v0
                                        ; implicit-def: $vgpr191_vgpr192
	s_delay_alu instid0(VALU_DEP_1) | instskip(NEXT) | instid1(VALU_DEP_1)
	v_cmp_gt_u32_e64 s5, s44, v5
	s_and_saveexec_b32 s6, s5
	s_cbranch_execz .LBB17_443
; %bb.442:
	global_load_b64 v[191:192], v[1:2], off offset:444416
	s_wait_loadcnt 0x0
	v_and_b32_e32 v192, 0x7fffffff, v192
.LBB17_443:
	s_or_b32 exec_lo, exec_lo, s6
	v_or_b32_e32 v5, 0xda00, v0
                                        ; implicit-def: $vgpr193_vgpr194
	s_delay_alu instid0(VALU_DEP_1) | instskip(NEXT) | instid1(VALU_DEP_1)
	v_cmp_gt_u32_e64 s6, s44, v5
	s_and_saveexec_b32 s7, s6
	s_cbranch_execz .LBB17_445
; %bb.444:
	global_load_b64 v[193:194], v[1:2], off offset:446464
	s_wait_loadcnt 0x0
	v_and_b32_e32 v194, 0x7fffffff, v194
.LBB17_445:
	s_or_b32 exec_lo, exec_lo, s7
	v_or_b32_e32 v5, 0xdb00, v0
                                        ; implicit-def: $vgpr195_vgpr196
	s_delay_alu instid0(VALU_DEP_1) | instskip(NEXT) | instid1(VALU_DEP_1)
	v_cmp_gt_u32_e64 s7, s44, v5
	s_and_saveexec_b32 s8, s7
	s_cbranch_execz .LBB17_447
; %bb.446:
	global_load_b64 v[195:196], v[1:2], off offset:448512
	s_wait_loadcnt 0x0
	v_and_b32_e32 v196, 0x7fffffff, v196
.LBB17_447:
	s_wait_alu 0xfffe
	s_or_b32 exec_lo, exec_lo, s8
	v_or_b32_e32 v5, 0xdc00, v0
                                        ; implicit-def: $vgpr197_vgpr198
	s_delay_alu instid0(VALU_DEP_1) | instskip(NEXT) | instid1(VALU_DEP_1)
	v_cmp_gt_u32_e64 s8, s44, v5
	s_and_saveexec_b32 s9, s8
	s_cbranch_execz .LBB17_449
; %bb.448:
	global_load_b64 v[197:198], v[1:2], off offset:450560
	s_wait_loadcnt 0x0
	v_and_b32_e32 v198, 0x7fffffff, v198
.LBB17_449:
	s_wait_alu 0xfffe
	s_or_b32 exec_lo, exec_lo, s9
	v_or_b32_e32 v5, 0xdd00, v0
                                        ; implicit-def: $vgpr199_vgpr200
	s_delay_alu instid0(VALU_DEP_1) | instskip(NEXT) | instid1(VALU_DEP_1)
	v_cmp_gt_u32_e64 s9, s44, v5
	s_and_saveexec_b32 s10, s9
	s_cbranch_execz .LBB17_451
; %bb.450:
	global_load_b64 v[199:200], v[1:2], off offset:452608
	s_wait_loadcnt 0x0
	v_and_b32_e32 v200, 0x7fffffff, v200
.LBB17_451:
	s_wait_alu 0xfffe
	s_or_b32 exec_lo, exec_lo, s10
	v_or_b32_e32 v5, 0xde00, v0
                                        ; implicit-def: $vgpr201_vgpr202
	s_delay_alu instid0(VALU_DEP_1) | instskip(NEXT) | instid1(VALU_DEP_1)
	v_cmp_gt_u32_e64 s10, s44, v5
	s_and_saveexec_b32 s11, s10
	s_cbranch_execz .LBB17_453
; %bb.452:
	global_load_b64 v[201:202], v[1:2], off offset:454656
	s_wait_loadcnt 0x0
	v_and_b32_e32 v202, 0x7fffffff, v202
.LBB17_453:
	s_wait_alu 0xfffe
	s_or_b32 exec_lo, exec_lo, s11
	v_or_b32_e32 v5, 0xdf00, v0
                                        ; implicit-def: $vgpr203_vgpr204
	s_delay_alu instid0(VALU_DEP_1) | instskip(NEXT) | instid1(VALU_DEP_1)
	v_cmp_gt_u32_e64 s11, s44, v5
	s_and_saveexec_b32 s12, s11
	s_cbranch_execz .LBB17_455
; %bb.454:
	global_load_b64 v[203:204], v[1:2], off offset:456704
	s_wait_loadcnt 0x0
	v_and_b32_e32 v204, 0x7fffffff, v204
.LBB17_455:
	s_wait_alu 0xfffe
	s_or_b32 exec_lo, exec_lo, s12
	v_or_b32_e32 v5, 0xe000, v0
                                        ; implicit-def: $vgpr205_vgpr206
	s_delay_alu instid0(VALU_DEP_1) | instskip(NEXT) | instid1(VALU_DEP_1)
	v_cmp_gt_u32_e64 s12, s44, v5
	s_and_saveexec_b32 s13, s12
	s_cbranch_execz .LBB17_457
; %bb.456:
	global_load_b64 v[205:206], v[1:2], off offset:458752
	s_wait_loadcnt 0x0
	v_and_b32_e32 v206, 0x7fffffff, v206
.LBB17_457:
	s_wait_alu 0xfffe
	s_or_b32 exec_lo, exec_lo, s13
	v_or_b32_e32 v5, 0xe100, v0
                                        ; implicit-def: $vgpr207_vgpr208
	s_delay_alu instid0(VALU_DEP_1) | instskip(NEXT) | instid1(VALU_DEP_1)
	v_cmp_gt_u32_e64 s13, s44, v5
	s_and_saveexec_b32 s14, s13
	s_cbranch_execz .LBB17_459
; %bb.458:
	global_load_b64 v[207:208], v[1:2], off offset:460800
	s_wait_loadcnt 0x0
	v_and_b32_e32 v208, 0x7fffffff, v208
.LBB17_459:
	s_or_b32 exec_lo, exec_lo, s14
	v_or_b32_e32 v5, 0xe200, v0
                                        ; implicit-def: $vgpr209_vgpr210
	s_delay_alu instid0(VALU_DEP_1) | instskip(NEXT) | instid1(VALU_DEP_1)
	v_cmp_gt_u32_e64 s14, s44, v5
	s_and_saveexec_b32 s15, s14
	s_cbranch_execz .LBB17_461
; %bb.460:
	global_load_b64 v[209:210], v[1:2], off offset:462848
	s_wait_loadcnt 0x0
	v_and_b32_e32 v210, 0x7fffffff, v210
.LBB17_461:
	s_or_b32 exec_lo, exec_lo, s15
	v_or_b32_e32 v5, 0xe300, v0
                                        ; implicit-def: $vgpr211_vgpr212
	s_delay_alu instid0(VALU_DEP_1) | instskip(NEXT) | instid1(VALU_DEP_1)
	v_cmp_gt_u32_e64 s15, s44, v5
	s_and_saveexec_b32 s16, s15
	s_cbranch_execz .LBB17_463
; %bb.462:
	global_load_b64 v[211:212], v[1:2], off offset:464896
	s_wait_loadcnt 0x0
	v_and_b32_e32 v212, 0x7fffffff, v212
.LBB17_463:
	s_or_b32 exec_lo, exec_lo, s16
	v_or_b32_e32 v5, 0xe400, v0
                                        ; implicit-def: $vgpr213_vgpr214
	s_delay_alu instid0(VALU_DEP_1) | instskip(NEXT) | instid1(VALU_DEP_1)
	v_cmp_gt_u32_e64 s16, s44, v5
	s_and_saveexec_b32 s17, s16
	s_cbranch_execz .LBB17_465
; %bb.464:
	global_load_b64 v[213:214], v[1:2], off offset:466944
	s_wait_loadcnt 0x0
	v_and_b32_e32 v214, 0x7fffffff, v214
.LBB17_465:
	s_or_b32 exec_lo, exec_lo, s17
	v_or_b32_e32 v5, 0xe500, v0
                                        ; implicit-def: $vgpr215_vgpr216
	s_delay_alu instid0(VALU_DEP_1) | instskip(NEXT) | instid1(VALU_DEP_1)
	v_cmp_gt_u32_e64 s17, s44, v5
	s_and_saveexec_b32 s18, s17
	s_cbranch_execz .LBB17_467
; %bb.466:
	global_load_b64 v[215:216], v[1:2], off offset:468992
	s_wait_loadcnt 0x0
	v_and_b32_e32 v216, 0x7fffffff, v216
.LBB17_467:
	s_or_b32 exec_lo, exec_lo, s18
	v_or_b32_e32 v5, 0xe600, v0
                                        ; implicit-def: $vgpr217_vgpr218
	s_delay_alu instid0(VALU_DEP_1) | instskip(NEXT) | instid1(VALU_DEP_1)
	v_cmp_gt_u32_e64 s18, s44, v5
	s_and_saveexec_b32 s19, s18
	s_cbranch_execz .LBB17_469
; %bb.468:
	global_load_b64 v[217:218], v[1:2], off offset:471040
	s_wait_loadcnt 0x0
	v_and_b32_e32 v218, 0x7fffffff, v218
.LBB17_469:
	s_or_b32 exec_lo, exec_lo, s19
	v_or_b32_e32 v5, 0xe700, v0
                                        ; implicit-def: $vgpr219_vgpr220
	s_delay_alu instid0(VALU_DEP_1) | instskip(NEXT) | instid1(VALU_DEP_1)
	v_cmp_gt_u32_e64 s19, s44, v5
	s_and_saveexec_b32 s20, s19
	s_cbranch_execz .LBB17_471
; %bb.470:
	global_load_b64 v[219:220], v[1:2], off offset:473088
	s_wait_loadcnt 0x0
	v_and_b32_e32 v220, 0x7fffffff, v220
.LBB17_471:
	s_or_b32 exec_lo, exec_lo, s20
	v_or_b32_e32 v5, 0xe800, v0
                                        ; implicit-def: $vgpr221_vgpr222
	s_delay_alu instid0(VALU_DEP_1) | instskip(NEXT) | instid1(VALU_DEP_1)
	v_cmp_gt_u32_e64 s20, s44, v5
	s_and_saveexec_b32 s21, s20
	s_cbranch_execz .LBB17_473
; %bb.472:
	global_load_b64 v[221:222], v[1:2], off offset:475136
	s_wait_loadcnt 0x0
	v_and_b32_e32 v222, 0x7fffffff, v222
.LBB17_473:
	s_or_b32 exec_lo, exec_lo, s21
	v_or_b32_e32 v5, 0xe900, v0
                                        ; implicit-def: $vgpr223_vgpr224
	s_delay_alu instid0(VALU_DEP_1) | instskip(NEXT) | instid1(VALU_DEP_1)
	v_cmp_gt_u32_e64 s21, s44, v5
	s_and_saveexec_b32 s22, s21
	s_cbranch_execz .LBB17_475
; %bb.474:
	global_load_b64 v[223:224], v[1:2], off offset:477184
	s_wait_loadcnt 0x0
	v_and_b32_e32 v224, 0x7fffffff, v224
.LBB17_475:
	s_or_b32 exec_lo, exec_lo, s22
	v_or_b32_e32 v5, 0xea00, v0
                                        ; implicit-def: $vgpr225_vgpr226
	s_delay_alu instid0(VALU_DEP_1) | instskip(NEXT) | instid1(VALU_DEP_1)
	v_cmp_gt_u32_e64 s22, s44, v5
	s_and_saveexec_b32 s23, s22
	s_cbranch_execz .LBB17_477
; %bb.476:
	global_load_b64 v[225:226], v[1:2], off offset:479232
	s_wait_loadcnt 0x0
	v_and_b32_e32 v226, 0x7fffffff, v226
.LBB17_477:
	s_or_b32 exec_lo, exec_lo, s23
	v_or_b32_e32 v5, 0xeb00, v0
                                        ; implicit-def: $vgpr227_vgpr228
	s_delay_alu instid0(VALU_DEP_1) | instskip(NEXT) | instid1(VALU_DEP_1)
	v_cmp_gt_u32_e64 s23, s44, v5
	s_and_saveexec_b32 s24, s23
	s_cbranch_execz .LBB17_479
; %bb.478:
	global_load_b64 v[227:228], v[1:2], off offset:481280
	s_wait_loadcnt 0x0
	v_and_b32_e32 v228, 0x7fffffff, v228
.LBB17_479:
	s_or_b32 exec_lo, exec_lo, s24
	v_or_b32_e32 v5, 0xec00, v0
                                        ; implicit-def: $vgpr229_vgpr230
	s_delay_alu instid0(VALU_DEP_1) | instskip(NEXT) | instid1(VALU_DEP_1)
	v_cmp_gt_u32_e64 s24, s44, v5
	s_and_saveexec_b32 s25, s24
	s_cbranch_execz .LBB17_481
; %bb.480:
	global_load_b64 v[229:230], v[1:2], off offset:483328
	s_wait_loadcnt 0x0
	v_and_b32_e32 v230, 0x7fffffff, v230
.LBB17_481:
	s_or_b32 exec_lo, exec_lo, s25
	v_or_b32_e32 v5, 0xed00, v0
                                        ; implicit-def: $vgpr231_vgpr232
	s_delay_alu instid0(VALU_DEP_1) | instskip(NEXT) | instid1(VALU_DEP_1)
	v_cmp_gt_u32_e64 s25, s44, v5
	s_and_saveexec_b32 s26, s25
	s_cbranch_execz .LBB17_483
; %bb.482:
	global_load_b64 v[231:232], v[1:2], off offset:485376
	s_wait_loadcnt 0x0
	v_and_b32_e32 v232, 0x7fffffff, v232
.LBB17_483:
	s_or_b32 exec_lo, exec_lo, s26
	v_or_b32_e32 v5, 0xee00, v0
                                        ; implicit-def: $vgpr233_vgpr234
	s_delay_alu instid0(VALU_DEP_1) | instskip(NEXT) | instid1(VALU_DEP_1)
	v_cmp_gt_u32_e64 s26, s44, v5
	s_and_saveexec_b32 s27, s26
	s_cbranch_execz .LBB17_485
; %bb.484:
	global_load_b64 v[233:234], v[1:2], off offset:487424
	s_wait_loadcnt 0x0
	v_and_b32_e32 v234, 0x7fffffff, v234
.LBB17_485:
	s_or_b32 exec_lo, exec_lo, s27
	v_or_b32_e32 v5, 0xef00, v0
                                        ; implicit-def: $vgpr235_vgpr236
	s_delay_alu instid0(VALU_DEP_1) | instskip(NEXT) | instid1(VALU_DEP_1)
	v_cmp_gt_u32_e64 s27, s44, v5
	s_and_saveexec_b32 s28, s27
	s_cbranch_execz .LBB17_487
; %bb.486:
	global_load_b64 v[235:236], v[1:2], off offset:489472
	s_wait_loadcnt 0x0
	v_and_b32_e32 v236, 0x7fffffff, v236
.LBB17_487:
	s_or_b32 exec_lo, exec_lo, s28
	v_or_b32_e32 v5, 0xf000, v0
                                        ; implicit-def: $vgpr237_vgpr238
	s_delay_alu instid0(VALU_DEP_1) | instskip(NEXT) | instid1(VALU_DEP_1)
	v_cmp_gt_u32_e64 s28, s44, v5
	s_and_saveexec_b32 s29, s28
	s_cbranch_execz .LBB17_489
; %bb.488:
	global_load_b64 v[237:238], v[1:2], off offset:491520
	s_wait_loadcnt 0x0
	v_and_b32_e32 v238, 0x7fffffff, v238
.LBB17_489:
	s_or_b32 exec_lo, exec_lo, s29
	v_or_b32_e32 v5, 0xf100, v0
                                        ; implicit-def: $vgpr239_vgpr240
	s_delay_alu instid0(VALU_DEP_1) | instskip(NEXT) | instid1(VALU_DEP_1)
	v_cmp_gt_u32_e64 s29, s44, v5
	s_and_saveexec_b32 s30, s29
	s_cbranch_execz .LBB17_491
; %bb.490:
	global_load_b64 v[239:240], v[1:2], off offset:493568
	s_wait_loadcnt 0x0
	v_and_b32_e32 v240, 0x7fffffff, v240
.LBB17_491:
	s_or_b32 exec_lo, exec_lo, s30
	v_or_b32_e32 v5, 0xf200, v0
                                        ; implicit-def: $vgpr241_vgpr242
	s_delay_alu instid0(VALU_DEP_1) | instskip(NEXT) | instid1(VALU_DEP_1)
	v_cmp_gt_u32_e64 s30, s44, v5
	s_and_saveexec_b32 s31, s30
	s_cbranch_execz .LBB17_493
; %bb.492:
	global_load_b64 v[241:242], v[1:2], off offset:495616
	s_wait_loadcnt 0x0
	v_and_b32_e32 v242, 0x7fffffff, v242
.LBB17_493:
	s_or_b32 exec_lo, exec_lo, s31
	v_or_b32_e32 v5, 0xf300, v0
                                        ; implicit-def: $vgpr243_vgpr244
	s_delay_alu instid0(VALU_DEP_1) | instskip(NEXT) | instid1(VALU_DEP_1)
	v_cmp_gt_u32_e64 s31, s44, v5
	s_and_saveexec_b32 s33, s31
	s_cbranch_execz .LBB17_495
; %bb.494:
	global_load_b64 v[243:244], v[1:2], off offset:497664
	s_wait_loadcnt 0x0
	v_and_b32_e32 v244, 0x7fffffff, v244
.LBB17_495:
	s_or_b32 exec_lo, exec_lo, s33
	v_or_b32_e32 v5, 0xf400, v0
                                        ; implicit-def: $vgpr245_vgpr246
	s_delay_alu instid0(VALU_DEP_1) | instskip(NEXT) | instid1(VALU_DEP_1)
	v_cmp_gt_u32_e64 s33, s44, v5
	s_and_saveexec_b32 s34, s33
	s_cbranch_execz .LBB17_497
; %bb.496:
	global_load_b64 v[245:246], v[1:2], off offset:499712
	s_wait_loadcnt 0x0
	v_and_b32_e32 v246, 0x7fffffff, v246
.LBB17_497:
	s_or_b32 exec_lo, exec_lo, s34
	v_or_b32_e32 v5, 0xf500, v0
                                        ; implicit-def: $vgpr247_vgpr248
	s_delay_alu instid0(VALU_DEP_1) | instskip(NEXT) | instid1(VALU_DEP_1)
	v_cmp_gt_u32_e64 s34, s44, v5
	s_and_saveexec_b32 s35, s34
	s_cbranch_execz .LBB17_499
; %bb.498:
	global_load_b64 v[247:248], v[1:2], off offset:501760
	s_wait_loadcnt 0x0
	v_and_b32_e32 v248, 0x7fffffff, v248
.LBB17_499:
	s_or_b32 exec_lo, exec_lo, s35
	v_or_b32_e32 v5, 0xf600, v0
                                        ; implicit-def: $vgpr249_vgpr250
	s_delay_alu instid0(VALU_DEP_1) | instskip(NEXT) | instid1(VALU_DEP_1)
	v_cmp_gt_u32_e64 s35, s44, v5
	s_and_saveexec_b32 s36, s35
	s_cbranch_execz .LBB17_501
; %bb.500:
	global_load_b64 v[249:250], v[1:2], off offset:503808
	s_wait_loadcnt 0x0
	v_and_b32_e32 v250, 0x7fffffff, v250
.LBB17_501:
	s_or_b32 exec_lo, exec_lo, s36
	v_or_b32_e32 v5, 0xf700, v0
	s_delay_alu instid0(VALU_DEP_1) | instskip(NEXT) | instid1(VALU_DEP_1)
	v_cmp_gt_u32_e64 s36, s44, v5
                                        ; implicit-def: $vgpr5_vgpr6
	s_and_saveexec_b32 s37, s36
	s_cbranch_execz .LBB17_503
; %bb.502:
	global_load_b64 v[5:6], v[1:2], off offset:505856
	s_wait_loadcnt 0x0
	v_and_b32_e32 v6, 0x7fffffff, v6
.LBB17_503:
	s_or_b32 exec_lo, exec_lo, s37
	v_or_b32_e32 v7, 0xf800, v0
	s_delay_alu instid0(VALU_DEP_1) | instskip(NEXT) | instid1(VALU_DEP_1)
	v_cmp_gt_u32_e64 s37, s44, v7
                                        ; implicit-def: $vgpr7_vgpr8
	s_and_saveexec_b32 s38, s37
	s_cbranch_execz .LBB17_505
; %bb.504:
	global_load_b64 v[7:8], v[1:2], off offset:507904
	s_wait_loadcnt 0x0
	v_and_b32_e32 v8, 0x7fffffff, v8
.LBB17_505:
	s_or_b32 exec_lo, exec_lo, s38
	v_or_b32_e32 v9, 0xf900, v0
	s_delay_alu instid0(VALU_DEP_1) | instskip(NEXT) | instid1(VALU_DEP_1)
	v_cmp_gt_u32_e64 s38, s44, v9
                                        ; implicit-def: $vgpr9_vgpr10
	s_and_saveexec_b32 s39, s38
	s_cbranch_execz .LBB17_507
; %bb.506:
	global_load_b64 v[9:10], v[1:2], off offset:509952
	s_wait_loadcnt 0x0
	v_and_b32_e32 v10, 0x7fffffff, v10
.LBB17_507:
	s_or_b32 exec_lo, exec_lo, s39
	v_or_b32_e32 v11, 0xfa00, v0
	s_delay_alu instid0(VALU_DEP_1) | instskip(NEXT) | instid1(VALU_DEP_1)
	v_cmp_gt_u32_e64 s39, s44, v11
                                        ; implicit-def: $vgpr11_vgpr12
	s_and_saveexec_b32 s40, s39
	s_cbranch_execz .LBB17_509
; %bb.508:
	global_load_b64 v[11:12], v[1:2], off offset:512000
	s_wait_loadcnt 0x0
	v_and_b32_e32 v12, 0x7fffffff, v12
.LBB17_509:
	s_or_b32 exec_lo, exec_lo, s40
	v_or_b32_e32 v13, 0xfb00, v0
	s_delay_alu instid0(VALU_DEP_1) | instskip(NEXT) | instid1(VALU_DEP_1)
	v_cmp_gt_u32_e64 s40, s44, v13
                                        ; implicit-def: $vgpr13_vgpr14
	s_and_saveexec_b32 s41, s40
	s_cbranch_execz .LBB17_511
; %bb.510:
	global_load_b64 v[13:14], v[1:2], off offset:514048
	s_wait_loadcnt 0x0
	v_and_b32_e32 v14, 0x7fffffff, v14
.LBB17_511:
	s_or_b32 exec_lo, exec_lo, s41
	v_or_b32_e32 v15, 0xfc00, v0
	s_delay_alu instid0(VALU_DEP_1) | instskip(NEXT) | instid1(VALU_DEP_1)
	v_cmp_gt_u32_e64 s41, s44, v15
                                        ; implicit-def: $vgpr15_vgpr16
	s_and_saveexec_b32 s42, s41
	s_cbranch_execz .LBB17_513
; %bb.512:
	global_load_b64 v[15:16], v[1:2], off offset:516096
	s_wait_loadcnt 0x0
	v_and_b32_e32 v16, 0x7fffffff, v16
.LBB17_513:
	s_or_b32 exec_lo, exec_lo, s42
	v_or_b32_e32 v17, 0xfd00, v0
	s_delay_alu instid0(VALU_DEP_1) | instskip(NEXT) | instid1(VALU_DEP_1)
	v_cmp_gt_u32_e64 s42, s44, v17
                                        ; implicit-def: $vgpr17_vgpr18
	s_and_saveexec_b32 s43, s42
	s_cbranch_execz .LBB17_515
; %bb.514:
	global_load_b64 v[17:18], v[1:2], off offset:518144
	s_wait_loadcnt 0x0
	v_and_b32_e32 v18, 0x7fffffff, v18
.LBB17_515:
	s_or_b32 exec_lo, exec_lo, s43
	v_or_b32_e32 v19, 0xfe00, v0
	s_delay_alu instid0(VALU_DEP_1) | instskip(NEXT) | instid1(VALU_DEP_1)
	v_cmp_gt_u32_e64 s43, s44, v19
                                        ; implicit-def: $vgpr19_vgpr20
	s_and_saveexec_b32 vcc_lo, s43
	s_cbranch_execz .LBB17_517
; %bb.516:
	global_load_b64 v[19:20], v[1:2], off offset:520192
	s_wait_loadcnt 0x0
	v_and_b32_e32 v20, 0x7fffffff, v20
.LBB17_517:
	s_or_b32 exec_lo, exec_lo, vcc_lo
	v_or_b32_e32 v21, 0xff00, v0
	s_delay_alu instid0(VALU_DEP_1)
	v_cmp_gt_u32_e32 vcc_lo, s44, v21
                                        ; implicit-def: $vgpr21_vgpr22
	s_and_saveexec_b32 s45, vcc_lo
	s_cbranch_execz .LBB17_519
; %bb.518:
	global_load_b64 v[21:22], v[1:2], off offset:522240
	s_wait_loadcnt 0x0
	v_and_b32_e32 v22, 0x7fffffff, v22
.LBB17_519:
	s_wait_alu 0xfffe
	s_or_b32 exec_lo, exec_lo, s45
	scratch_load_b64 v[1:2], off, off th:TH_LOAD_LU ; 8-byte Folded Reload
	v_readlane_b32 s45, v251, 8
	s_wait_loadcnt 0x0
	v_add_f64_e32 v[1:2], v[3:4], v[1:2]
	s_wait_alu 0xf1ff
	s_delay_alu instid0(VALU_DEP_1) | instskip(NEXT) | instid1(VALU_DEP_2)
	v_cndmask_b32_e64 v2, v4, v2, s45
	v_cndmask_b32_e64 v1, v3, v1, s45
	scratch_load_b64 v[3:4], off, off offset:8 th:TH_LOAD_LU ; 8-byte Folded Reload
	v_readlane_b32 s45, v251, 9
	s_wait_loadcnt 0x0
	v_add_f64_e32 v[3:4], v[1:2], v[3:4]
	s_wait_alu 0xf1ff
	s_delay_alu instid0(VALU_DEP_1) | instskip(NEXT) | instid1(VALU_DEP_2)
	v_cndmask_b32_e64 v2, v2, v4, s45
	v_cndmask_b32_e64 v1, v1, v3, s45
	scratch_load_b64 v[3:4], off, off offset:16 th:TH_LOAD_LU ; 8-byte Folded Reload
	;; [unrolled: 8-line block ×131, first 2 shown]
	v_readlane_b32 s45, v255, 11
	s_wait_loadcnt 0x0
	v_add_f64_e32 v[3:4], v[1:2], v[3:4]
	s_wait_alu 0xf1ff
	s_delay_alu instid0(VALU_DEP_1) | instskip(NEXT) | instid1(VALU_DEP_2)
	v_cndmask_b32_e64 v2, v2, v4, s45
	v_cndmask_b32_e64 v1, v1, v3, s45
	v_readlane_b32 s45, v255, 12
	s_delay_alu instid0(VALU_DEP_2) | instskip(SKIP_1) | instid1(VALU_DEP_1)
	v_add_f64_e32 v[3:4], v[1:2], v[23:24]
	s_wait_alu 0xf1ff
	v_cndmask_b32_e64 v2, v2, v4, s45
	s_delay_alu instid0(VALU_DEP_2) | instskip(SKIP_1) | instid1(VALU_DEP_2)
	v_cndmask_b32_e64 v1, v1, v3, s45
	v_readlane_b32 s45, v255, 13
	v_add_f64_e32 v[3:4], v[1:2], v[25:26]
	s_wait_alu 0xf1ff
	s_delay_alu instid0(VALU_DEP_1) | instskip(NEXT) | instid1(VALU_DEP_2)
	v_cndmask_b32_e64 v2, v2, v4, s45
	v_cndmask_b32_e64 v1, v1, v3, s45
	v_readlane_b32 s45, v255, 14
	s_delay_alu instid0(VALU_DEP_2) | instskip(SKIP_1) | instid1(VALU_DEP_1)
	v_add_f64_e32 v[3:4], v[1:2], v[27:28]
	s_wait_alu 0xf1ff
	v_cndmask_b32_e64 v2, v2, v4, s45
	s_delay_alu instid0(VALU_DEP_2) | instskip(SKIP_1) | instid1(VALU_DEP_2)
	v_cndmask_b32_e64 v1, v1, v3, s45
	v_readlane_b32 s45, v255, 15
	;; [unrolled: 13-line block ×10, first 2 shown]
	v_add_f64_e32 v[3:4], v[1:2], v[61:62]
	s_wait_alu 0xf1ff
	s_delay_alu instid0(VALU_DEP_1) | instskip(NEXT) | instid1(VALU_DEP_2)
	v_cndmask_b32_e64 v2, v2, v4, s45
	v_cndmask_b32_e64 v1, v1, v3, s45
	s_delay_alu instid0(VALU_DEP_1) | instskip(NEXT) | instid1(VALU_DEP_1)
	v_add_f64_e32 v[3:4], v[1:2], v[63:64]
	v_cndmask_b32_e64 v2, v2, v4, s47
	s_delay_alu instid0(VALU_DEP_2) | instskip(NEXT) | instid1(VALU_DEP_1)
	v_cndmask_b32_e64 v1, v1, v3, s47
	v_add_f64_e32 v[3:4], v[1:2], v[65:66]
	s_delay_alu instid0(VALU_DEP_1) | instskip(NEXT) | instid1(VALU_DEP_2)
	v_cndmask_b32_e64 v2, v2, v4, s48
	v_cndmask_b32_e64 v1, v1, v3, s48
	s_delay_alu instid0(VALU_DEP_1) | instskip(NEXT) | instid1(VALU_DEP_1)
	v_add_f64_e32 v[3:4], v[1:2], v[67:68]
	v_cndmask_b32_e64 v2, v2, v4, s49
	s_delay_alu instid0(VALU_DEP_2) | instskip(NEXT) | instid1(VALU_DEP_1)
	v_cndmask_b32_e64 v1, v1, v3, s49
	v_add_f64_e32 v[3:4], v[1:2], v[69:70]
	;; [unrolled: 9-line block ×29, first 2 shown]
	s_delay_alu instid0(VALU_DEP_1) | instskip(NEXT) | instid1(VALU_DEP_2)
	v_cndmask_b32_e64 v2, v2, v4, s104
	v_cndmask_b32_e64 v1, v1, v3, s104
	s_delay_alu instid0(VALU_DEP_1) | instskip(NEXT) | instid1(VALU_DEP_1)
	v_add_f64_e32 v[3:4], v[1:2], v[179:180]
	v_cndmask_b32_e64 v2, v2, v4, vcc_hi
	s_delay_alu instid0(VALU_DEP_2) | instskip(NEXT) | instid1(VALU_DEP_1)
	v_cndmask_b32_e64 v1, v1, v3, vcc_hi
	v_add_f64_e32 v[3:4], v[1:2], v[181:182]
	s_delay_alu instid0(VALU_DEP_1) | instskip(NEXT) | instid1(VALU_DEP_2)
	v_cndmask_b32_e64 v2, v2, v4, s0
	v_cndmask_b32_e64 v1, v1, v3, s0
	s_delay_alu instid0(VALU_DEP_1) | instskip(NEXT) | instid1(VALU_DEP_1)
	v_add_f64_e32 v[3:4], v[1:2], v[183:184]
	v_cndmask_b32_e64 v2, v2, v4, s1
	s_delay_alu instid0(VALU_DEP_2) | instskip(SKIP_1) | instid1(VALU_DEP_1)
	v_cndmask_b32_e64 v1, v1, v3, s1
	s_mov_b32 s1, exec_lo
	v_add_f64_e32 v[3:4], v[1:2], v[185:186]
	s_delay_alu instid0(VALU_DEP_1) | instskip(NEXT) | instid1(VALU_DEP_2)
	v_cndmask_b32_e64 v2, v2, v4, s2
	v_cndmask_b32_e64 v1, v1, v3, s2
	s_delay_alu instid0(VALU_DEP_1) | instskip(NEXT) | instid1(VALU_DEP_1)
	v_add_f64_e32 v[3:4], v[1:2], v[187:188]
	v_cndmask_b32_e64 v2, v2, v4, s3
	s_delay_alu instid0(VALU_DEP_2) | instskip(NEXT) | instid1(VALU_DEP_1)
	v_cndmask_b32_e64 v1, v1, v3, s3
	v_add_f64_e32 v[3:4], v[1:2], v[189:190]
	s_delay_alu instid0(VALU_DEP_1) | instskip(NEXT) | instid1(VALU_DEP_2)
	v_cndmask_b32_e64 v2, v2, v4, s4
	v_cndmask_b32_e64 v1, v1, v3, s4
	s_delay_alu instid0(VALU_DEP_1) | instskip(NEXT) | instid1(VALU_DEP_1)
	v_add_f64_e32 v[3:4], v[1:2], v[191:192]
	v_cndmask_b32_e64 v2, v2, v4, s5
	s_delay_alu instid0(VALU_DEP_2) | instskip(NEXT) | instid1(VALU_DEP_1)
	v_cndmask_b32_e64 v1, v1, v3, s5
	;; [unrolled: 9-line block ×16, first 2 shown]
	v_add_f64_e32 v[3:4], v[1:2], v[249:250]
	s_delay_alu instid0(VALU_DEP_1) | instskip(NEXT) | instid1(VALU_DEP_2)
	v_cndmask_b32_e64 v2, v2, v4, s35
	v_cndmask_b32_e64 v1, v1, v3, s35
	s_delay_alu instid0(VALU_DEP_1) | instskip(SKIP_1) | instid1(VALU_DEP_1)
	v_add_f64_e32 v[3:4], v[1:2], v[5:6]
	v_mbcnt_lo_u32_b32 v5, -1, 0
	v_cmp_ne_u32_e64 s0, 31, v5
	s_wait_alu 0xf1ff
	s_delay_alu instid0(VALU_DEP_1) | instskip(SKIP_1) | instid1(VALU_DEP_4)
	v_add_co_ci_u32_e64 v6, s0, 0, v5, s0
	s_min_u32 s0, s44, 0x100
	v_cndmask_b32_e64 v2, v2, v4, s36
	v_cndmask_b32_e64 v1, v1, v3, s36
	s_delay_alu instid0(VALU_DEP_1) | instskip(SKIP_1) | instid1(VALU_DEP_2)
	v_add_f64_e32 v[3:4], v[1:2], v[7:8]
	v_add_nc_u32_e32 v7, 1, v5
	v_cndmask_b32_e64 v2, v2, v4, s37
	s_delay_alu instid0(VALU_DEP_3) | instskip(NEXT) | instid1(VALU_DEP_1)
	v_cndmask_b32_e64 v1, v1, v3, s37
	v_add_f64_e32 v[3:4], v[1:2], v[9:10]
	s_delay_alu instid0(VALU_DEP_1) | instskip(NEXT) | instid1(VALU_DEP_2)
	v_cndmask_b32_e64 v2, v2, v4, s38
	v_cndmask_b32_e64 v1, v1, v3, s38
	s_delay_alu instid0(VALU_DEP_1) | instskip(NEXT) | instid1(VALU_DEP_1)
	v_add_f64_e32 v[3:4], v[1:2], v[11:12]
	v_cndmask_b32_e64 v2, v2, v4, s39
	s_delay_alu instid0(VALU_DEP_2) | instskip(NEXT) | instid1(VALU_DEP_1)
	v_cndmask_b32_e64 v1, v1, v3, s39
	v_add_f64_e32 v[3:4], v[1:2], v[13:14]
	s_delay_alu instid0(VALU_DEP_1) | instskip(NEXT) | instid1(VALU_DEP_2)
	v_cndmask_b32_e64 v2, v2, v4, s40
	v_cndmask_b32_e64 v1, v1, v3, s40
	s_delay_alu instid0(VALU_DEP_1) | instskip(NEXT) | instid1(VALU_DEP_1)
	v_add_f64_e32 v[3:4], v[1:2], v[15:16]
	v_cndmask_b32_e64 v2, v2, v4, s41
	s_delay_alu instid0(VALU_DEP_2) | instskip(NEXT) | instid1(VALU_DEP_1)
	;; [unrolled: 9-line block ×3, first 2 shown]
	v_cndmask_b32_e64 v1, v1, v3, s43
	v_add_f64_e32 v[3:4], v[1:2], v[21:22]
	s_delay_alu instid0(VALU_DEP_1) | instskip(NEXT) | instid1(VALU_DEP_2)
	v_dual_cndmask_b32 v3, v1, v3 :: v_dual_lshlrev_b32 v6, 2, v6
	v_cndmask_b32_e32 v4, v2, v4, vcc_lo
	ds_bpermute_b32 v1, v6, v3
	ds_bpermute_b32 v2, v6, v4
	v_and_b32_e32 v6, 0xe0, v0
	s_wait_alu 0xfffe
	s_delay_alu instid0(VALU_DEP_1) | instskip(NEXT) | instid1(VALU_DEP_1)
	v_sub_nc_u32_e64 v6, s0, v6 clamp
	v_cmpx_lt_u32_e64 v7, v6
	s_cbranch_execz .LBB17_521
; %bb.520:
	s_wait_dscnt 0x0
	v_add_f64_e32 v[3:4], v[3:4], v[1:2]
.LBB17_521:
	s_or_b32 exec_lo, exec_lo, s1
	v_cmp_gt_u32_e32 vcc_lo, 30, v5
	v_add_nc_u32_e32 v7, 2, v5
	s_mov_b32 s1, exec_lo
	s_wait_dscnt 0x1
	s_wait_alu 0xfffd
	v_cndmask_b32_e64 v1, 0, 1, vcc_lo
	s_delay_alu instid0(VALU_DEP_1) | instskip(SKIP_1) | instid1(VALU_DEP_1)
	v_lshlrev_b32_e32 v1, 1, v1
	s_wait_dscnt 0x0
	v_add_lshl_u32 v2, v1, v5, 2
	ds_bpermute_b32 v1, v2, v3
	ds_bpermute_b32 v2, v2, v4
	v_cmpx_lt_u32_e64 v7, v6
	s_cbranch_execz .LBB17_523
; %bb.522:
	s_wait_dscnt 0x0
	v_add_f64_e32 v[3:4], v[3:4], v[1:2]
.LBB17_523:
	s_wait_alu 0xfffe
	s_or_b32 exec_lo, exec_lo, s1
	v_cmp_gt_u32_e32 vcc_lo, 28, v5
	v_add_nc_u32_e32 v7, 4, v5
	s_mov_b32 s1, exec_lo
	s_wait_dscnt 0x1
	s_wait_alu 0xfffd
	v_cndmask_b32_e64 v1, 0, 1, vcc_lo
	s_delay_alu instid0(VALU_DEP_1) | instskip(SKIP_1) | instid1(VALU_DEP_1)
	v_lshlrev_b32_e32 v1, 2, v1
	s_wait_dscnt 0x0
	v_add_lshl_u32 v2, v1, v5, 2
	ds_bpermute_b32 v1, v2, v3
	ds_bpermute_b32 v2, v2, v4
	v_cmpx_lt_u32_e64 v7, v6
	s_cbranch_execz .LBB17_525
; %bb.524:
	s_wait_dscnt 0x0
	v_add_f64_e32 v[3:4], v[3:4], v[1:2]
.LBB17_525:
	s_wait_alu 0xfffe
	;; [unrolled: 20-line block ×4, first 2 shown]
	s_or_b32 exec_lo, exec_lo, s1
	s_delay_alu instid0(SALU_CYCLE_1)
	s_mov_b32 s1, exec_lo
	v_cmpx_eq_u32_e32 0, v5
	s_cbranch_execz .LBB17_531
; %bb.530:
	s_wait_dscnt 0x1
	v_lshrrev_b32_e32 v1, 2, v0
	s_delay_alu instid0(VALU_DEP_1)
	v_and_b32_e32 v1, 56, v1
	ds_store_b64 v1, v[3:4] offset:64
.LBB17_531:
	s_wait_alu 0xfffe
	s_or_b32 exec_lo, exec_lo, s1
	s_delay_alu instid0(SALU_CYCLE_1)
	s_mov_b32 s1, exec_lo
	global_wb scope:SCOPE_SE
	s_wait_storecnt_dscnt 0x0
	s_barrier_signal -1
	s_barrier_wait -1
	global_inv scope:SCOPE_SE
	v_cmpx_gt_u32_e32 8, v0
	s_cbranch_execz .LBB17_539
; %bb.532:
	v_lshlrev_b32_e32 v1, 3, v5
	v_and_b32_e32 v6, 7, v5
	s_add_co_i32 s0, s0, 31
	s_mov_b32 s2, exec_lo
	s_wait_alu 0xfffe
	s_lshr_b32 s0, s0, 5
	ds_load_b64 v[3:4], v1 offset:64
	v_cmp_ne_u32_e32 vcc_lo, 7, v6
	v_add_nc_u32_e32 v7, 1, v6
	s_wait_alu 0xfffd
	v_add_co_ci_u32_e32 v1, vcc_lo, 0, v5, vcc_lo
	s_delay_alu instid0(VALU_DEP_1)
	v_lshlrev_b32_e32 v2, 2, v1
	s_wait_dscnt 0x0
	ds_bpermute_b32 v1, v2, v3
	ds_bpermute_b32 v2, v2, v4
	s_wait_alu 0xfffe
	v_cmpx_gt_u32_e64 s0, v7
	s_cbranch_execz .LBB17_534
; %bb.533:
	s_wait_dscnt 0x0
	v_add_f64_e32 v[3:4], v[3:4], v[1:2]
.LBB17_534:
	s_or_b32 exec_lo, exec_lo, s2
	v_cmp_gt_u32_e32 vcc_lo, 6, v6
	v_add_nc_u32_e32 v7, 2, v6
	s_mov_b32 s2, exec_lo
	s_wait_dscnt 0x1
	s_wait_alu 0xfffd
	v_cndmask_b32_e64 v1, 0, 1, vcc_lo
	s_delay_alu instid0(VALU_DEP_1) | instskip(SKIP_1) | instid1(VALU_DEP_1)
	v_lshlrev_b32_e32 v1, 1, v1
	s_wait_dscnt 0x0
	v_add_lshl_u32 v2, v1, v5, 2
	ds_bpermute_b32 v1, v2, v3
	ds_bpermute_b32 v2, v2, v4
	v_cmpx_gt_u32_e64 s0, v7
	s_cbranch_execz .LBB17_536
; %bb.535:
	s_wait_dscnt 0x0
	v_add_f64_e32 v[3:4], v[3:4], v[1:2]
.LBB17_536:
	s_wait_alu 0xfffe
	s_or_b32 exec_lo, exec_lo, s2
	v_cmp_gt_u32_e32 vcc_lo, 4, v6
	s_wait_dscnt 0x1
	s_wait_alu 0xfffd
	v_cndmask_b32_e64 v1, 0, 1, vcc_lo
	s_delay_alu instid0(VALU_DEP_1) | instskip(SKIP_1) | instid1(VALU_DEP_1)
	v_lshlrev_b32_e32 v1, 2, v1
	s_wait_dscnt 0x0
	v_add_lshl_u32 v2, v1, v5, 2
	v_add_nc_u32_e32 v5, 4, v6
	ds_bpermute_b32 v1, v2, v3
	ds_bpermute_b32 v2, v2, v4
	v_cmp_gt_u32_e32 vcc_lo, s0, v5
	s_and_saveexec_b32 s0, vcc_lo
	s_cbranch_execz .LBB17_538
; %bb.537:
	s_wait_dscnt 0x0
	v_add_f64_e32 v[3:4], v[3:4], v[1:2]
.LBB17_538:
	s_wait_alu 0xfffe
	s_or_b32 exec_lo, exec_lo, s0
.LBB17_539:
	s_wait_alu 0xfffe
	s_or_b32 exec_lo, exec_lo, s1
.LBB17_540:
	s_delay_alu instid0(SALU_CYCLE_1)
	s_mov_b32 s0, exec_lo
	v_cmpx_eq_u32_e32 0, v0
	s_cbranch_execz .LBB17_542
; %bb.541:
	v_readlane_b32 s8, v251, 0
	v_readlane_b32 s9, v251, 1
	;; [unrolled: 1-line block ×6, first 2 shown]
	s_wait_dscnt 0x1
	s_wait_alu 0xf1ff
	v_add_f64_e32 v[0:1], s[8:9], v[3:4]
	v_readlane_b32 s6, v251, 4
	s_wait_alu 0xfffe
	s_lshl_b64 s[0:1], s[0:1], 3
	v_readlane_b32 s7, v251, 5
	s_cmp_eq_u64 s[4:5], 0
	s_wait_dscnt 0x0
	v_mov_b32_e32 v2, 0
	s_cselect_b32 s2, -1, 0
	s_wait_alu 0xfffe
	s_add_nc_u64 s[0:1], s[6:7], s[0:1]
	s_delay_alu instid0(VALU_DEP_4)
	v_cndmask_b32_e64 v1, v1, s9, s2
	v_cndmask_b32_e64 v0, v0, s8, s2
	global_store_b64 v2, v[0:1], s[0:1]
.LBB17_542:
	s_nop 0
	s_sendmsg sendmsg(MSG_DEALLOC_VGPRS)
	s_endpgm
	.section	.rodata,"a",@progbits
	.p2align	6, 0x0
	.amdhsa_kernel _ZN7rocprim6detail19block_reduce_kernelILb1ELb1ELj16ENS0_21wrapped_reduce_configINS_14default_configEdEEdN6thrust11hip_rocprim26transform_input_iterator_tIdNS5_6detail15normal_iteratorINS5_10device_ptrIdEEEEZ4mainEUldE_EEPddNS5_4plusIdEEEEvT4_mT5_T6_T7_
		.amdhsa_group_segment_fixed_size 128
		.amdhsa_private_segment_fixed_size 1060
		.amdhsa_kernarg_size 44
		.amdhsa_user_sgpr_count 2
		.amdhsa_user_sgpr_dispatch_ptr 0
		.amdhsa_user_sgpr_queue_ptr 0
		.amdhsa_user_sgpr_kernarg_segment_ptr 1
		.amdhsa_user_sgpr_dispatch_id 0
		.amdhsa_user_sgpr_private_segment_size 0
		.amdhsa_wavefront_size32 1
		.amdhsa_uses_dynamic_stack 0
		.amdhsa_enable_private_segment 1
		.amdhsa_system_sgpr_workgroup_id_x 1
		.amdhsa_system_sgpr_workgroup_id_y 0
		.amdhsa_system_sgpr_workgroup_id_z 0
		.amdhsa_system_sgpr_workgroup_info 0
		.amdhsa_system_vgpr_workitem_id 0
		.amdhsa_next_free_vgpr 256
		.amdhsa_next_free_sgpr 105
		.amdhsa_reserve_vcc 1
		.amdhsa_float_round_mode_32 0
		.amdhsa_float_round_mode_16_64 0
		.amdhsa_float_denorm_mode_32 3
		.amdhsa_float_denorm_mode_16_64 3
		.amdhsa_fp16_overflow 0
		.amdhsa_workgroup_processor_mode 1
		.amdhsa_memory_ordered 1
		.amdhsa_forward_progress 0
		.amdhsa_round_robin_scheduling 0
		.amdhsa_exception_fp_ieee_invalid_op 0
		.amdhsa_exception_fp_denorm_src 0
		.amdhsa_exception_fp_ieee_div_zero 0
		.amdhsa_exception_fp_ieee_overflow 0
		.amdhsa_exception_fp_ieee_underflow 0
		.amdhsa_exception_fp_ieee_inexact 0
		.amdhsa_exception_int_div_zero 0
	.end_amdhsa_kernel
	.section	.text._ZN7rocprim6detail19block_reduce_kernelILb1ELb1ELj16ENS0_21wrapped_reduce_configINS_14default_configEdEEdN6thrust11hip_rocprim26transform_input_iterator_tIdNS5_6detail15normal_iteratorINS5_10device_ptrIdEEEEZ4mainEUldE_EEPddNS5_4plusIdEEEEvT4_mT5_T6_T7_,"axG",@progbits,_ZN7rocprim6detail19block_reduce_kernelILb1ELb1ELj16ENS0_21wrapped_reduce_configINS_14default_configEdEEdN6thrust11hip_rocprim26transform_input_iterator_tIdNS5_6detail15normal_iteratorINS5_10device_ptrIdEEEEZ4mainEUldE_EEPddNS5_4plusIdEEEEvT4_mT5_T6_T7_,comdat
.Lfunc_end17:
	.size	_ZN7rocprim6detail19block_reduce_kernelILb1ELb1ELj16ENS0_21wrapped_reduce_configINS_14default_configEdEEdN6thrust11hip_rocprim26transform_input_iterator_tIdNS5_6detail15normal_iteratorINS5_10device_ptrIdEEEEZ4mainEUldE_EEPddNS5_4plusIdEEEEvT4_mT5_T6_T7_, .Lfunc_end17-_ZN7rocprim6detail19block_reduce_kernelILb1ELb1ELj16ENS0_21wrapped_reduce_configINS_14default_configEdEEdN6thrust11hip_rocprim26transform_input_iterator_tIdNS5_6detail15normal_iteratorINS5_10device_ptrIdEEEEZ4mainEUldE_EEPddNS5_4plusIdEEEEvT4_mT5_T6_T7_
                                        ; -- End function
	.section	.AMDGPU.csdata,"",@progbits
; Kernel info:
; codeLenInByte = 36748
; NumSgprs: 107
; NumVgprs: 256
; ScratchSize: 1060
; MemoryBound: 1
; FloatMode: 240
; IeeeMode: 1
; LDSByteSize: 128 bytes/workgroup (compile time only)
; SGPRBlocks: 13
; VGPRBlocks: 31
; NumSGPRsForWavesPerEU: 107
; NumVGPRsForWavesPerEU: 256
; Occupancy: 5
; WaveLimiterHint : 1
; COMPUTE_PGM_RSRC2:SCRATCH_EN: 1
; COMPUTE_PGM_RSRC2:USER_SGPR: 2
; COMPUTE_PGM_RSRC2:TRAP_HANDLER: 0
; COMPUTE_PGM_RSRC2:TGID_X_EN: 1
; COMPUTE_PGM_RSRC2:TGID_Y_EN: 0
; COMPUTE_PGM_RSRC2:TGID_Z_EN: 0
; COMPUTE_PGM_RSRC2:TIDIG_COMP_CNT: 0
	.section	.text._ZN7rocprim6detail19block_reduce_kernelILb1ELb0ELj16ENS0_21wrapped_reduce_configINS_14default_configEdEEdN6thrust11hip_rocprim26transform_input_iterator_tIdNS5_6detail15normal_iteratorINS5_10device_ptrIdEEEEZ4mainEUldE_EEPddNS5_4plusIdEEEEvT4_mT5_T6_T7_,"axG",@progbits,_ZN7rocprim6detail19block_reduce_kernelILb1ELb0ELj16ENS0_21wrapped_reduce_configINS_14default_configEdEEdN6thrust11hip_rocprim26transform_input_iterator_tIdNS5_6detail15normal_iteratorINS5_10device_ptrIdEEEEZ4mainEUldE_EEPddNS5_4plusIdEEEEvT4_mT5_T6_T7_,comdat
	.globl	_ZN7rocprim6detail19block_reduce_kernelILb1ELb0ELj16ENS0_21wrapped_reduce_configINS_14default_configEdEEdN6thrust11hip_rocprim26transform_input_iterator_tIdNS5_6detail15normal_iteratorINS5_10device_ptrIdEEEEZ4mainEUldE_EEPddNS5_4plusIdEEEEvT4_mT5_T6_T7_ ; -- Begin function _ZN7rocprim6detail19block_reduce_kernelILb1ELb0ELj16ENS0_21wrapped_reduce_configINS_14default_configEdEEdN6thrust11hip_rocprim26transform_input_iterator_tIdNS5_6detail15normal_iteratorINS5_10device_ptrIdEEEEZ4mainEUldE_EEPddNS5_4plusIdEEEEvT4_mT5_T6_T7_
	.p2align	8
	.type	_ZN7rocprim6detail19block_reduce_kernelILb1ELb0ELj16ENS0_21wrapped_reduce_configINS_14default_configEdEEdN6thrust11hip_rocprim26transform_input_iterator_tIdNS5_6detail15normal_iteratorINS5_10device_ptrIdEEEEZ4mainEUldE_EEPddNS5_4plusIdEEEEvT4_mT5_T6_T7_,@function
_ZN7rocprim6detail19block_reduce_kernelILb1ELb0ELj16ENS0_21wrapped_reduce_configINS_14default_configEdEEdN6thrust11hip_rocprim26transform_input_iterator_tIdNS5_6detail15normal_iteratorINS5_10device_ptrIdEEEEZ4mainEUldE_EEPddNS5_4plusIdEEEEvT4_mT5_T6_T7_: ; @_ZN7rocprim6detail19block_reduce_kernelILb1ELb0ELj16ENS0_21wrapped_reduce_configINS_14default_configEdEEdN6thrust11hip_rocprim26transform_input_iterator_tIdNS5_6detail15normal_iteratorINS5_10device_ptrIdEEEEZ4mainEUldE_EEPddNS5_4plusIdEEEEvT4_mT5_T6_T7_
; %bb.0:
	s_clause 0x2
	s_load_b128 s[4:7], s[0:1], 0x10
	s_load_b64 s[8:9], s[0:1], 0x0
	s_load_b64 s[0:1], s[0:1], 0x20
	s_mov_b32 s11, 0
	v_mbcnt_lo_u32_b32 v5, -1, 0
	s_mov_b32 s2, ttmp9
	s_mov_b32 s3, s11
	s_lshl_b32 s10, ttmp9, 8
	s_wait_kmcnt 0x0
	s_lshr_b64 s[12:13], s[4:5], 8
	s_delay_alu instid0(SALU_CYCLE_1)
	s_cmp_lg_u64 s[12:13], s[2:3]
	s_cbranch_scc0 .LBB18_6
; %bb.1:
	v_lshlrev_b32_e32 v1, 3, v0
	s_lshl_b64 s[12:13], s[10:11], 3
	s_delay_alu instid0(SALU_CYCLE_1)
	s_add_nc_u64 s[12:13], s[8:9], s[12:13]
	global_load_b64 v[1:2], v1, s[12:13]
	s_mov_b32 s12, exec_lo
	s_wait_loadcnt 0x0
	v_and_b32_e32 v4, 0x7fffffff, v2
	v_mov_b32_dpp v3, v1 quad_perm:[1,0,3,2] row_mask:0xf bank_mask:0xf
	s_delay_alu instid0(VALU_DEP_2) | instskip(NEXT) | instid1(VALU_DEP_1)
	v_mov_b32_dpp v4, v4 quad_perm:[1,0,3,2] row_mask:0xf bank_mask:0xf
	v_add_f64_e64 v[1:2], |v[1:2]|, v[3:4]
	s_delay_alu instid0(VALU_DEP_1) | instskip(NEXT) | instid1(VALU_DEP_2)
	v_mov_b32_dpp v3, v1 quad_perm:[2,3,0,1] row_mask:0xf bank_mask:0xf
	v_mov_b32_dpp v4, v2 quad_perm:[2,3,0,1] row_mask:0xf bank_mask:0xf
	s_delay_alu instid0(VALU_DEP_1) | instskip(NEXT) | instid1(VALU_DEP_1)
	v_add_f64_e32 v[1:2], v[1:2], v[3:4]
	v_mov_b32_dpp v3, v1 row_ror:4 row_mask:0xf bank_mask:0xf
	s_delay_alu instid0(VALU_DEP_2) | instskip(NEXT) | instid1(VALU_DEP_1)
	v_mov_b32_dpp v4, v2 row_ror:4 row_mask:0xf bank_mask:0xf
	v_add_f64_e32 v[1:2], v[1:2], v[3:4]
	s_delay_alu instid0(VALU_DEP_1) | instskip(NEXT) | instid1(VALU_DEP_2)
	v_mov_b32_dpp v3, v1 row_ror:8 row_mask:0xf bank_mask:0xf
	v_mov_b32_dpp v4, v2 row_ror:8 row_mask:0xf bank_mask:0xf
	s_delay_alu instid0(VALU_DEP_1)
	v_add_f64_e32 v[1:2], v[1:2], v[3:4]
	ds_swizzle_b32 v3, v1 offset:swizzle(BROADCAST,32,15)
	ds_swizzle_b32 v4, v2 offset:swizzle(BROADCAST,32,15)
	s_wait_dscnt 0x0
	v_add_f64_e32 v[1:2], v[1:2], v[3:4]
	v_mov_b32_e32 v3, 0
	ds_bpermute_b32 v1, v3, v1 offset:124
	ds_bpermute_b32 v2, v3, v2 offset:124
	v_cmpx_eq_u32_e32 0, v5
	s_cbranch_execz .LBB18_3
; %bb.2:
	v_lshrrev_b32_e32 v3, 2, v0
	s_delay_alu instid0(VALU_DEP_1)
	v_and_b32_e32 v3, 56, v3
	s_wait_dscnt 0x0
	ds_store_b64 v3, v[1:2]
.LBB18_3:
	s_or_b32 exec_lo, exec_lo, s12
	s_delay_alu instid0(SALU_CYCLE_1)
	s_mov_b32 s12, exec_lo
	global_wb scope:SCOPE_SE
	s_wait_dscnt 0x0
	s_barrier_signal -1
	s_barrier_wait -1
	global_inv scope:SCOPE_SE
	v_cmpx_gt_u32_e32 32, v0
	s_cbranch_execz .LBB18_5
; %bb.4:
	v_and_b32_e32 v6, 7, v5
	s_delay_alu instid0(VALU_DEP_1) | instskip(SKIP_4) | instid1(VALU_DEP_2)
	v_lshlrev_b32_e32 v1, 3, v6
	v_cmp_ne_u32_e32 vcc_lo, 7, v6
	ds_load_b64 v[1:2], v1
	v_add_co_ci_u32_e32 v3, vcc_lo, 0, v5, vcc_lo
	v_cmp_gt_u32_e32 vcc_lo, 6, v6
	v_lshlrev_b32_e32 v4, 2, v3
	s_wait_dscnt 0x0
	ds_bpermute_b32 v3, v4, v1
	ds_bpermute_b32 v4, v4, v2
	s_wait_dscnt 0x0
	v_add_f64_e32 v[1:2], v[1:2], v[3:4]
	s_wait_alu 0xfffd
	v_cndmask_b32_e64 v3, 0, 1, vcc_lo
	v_cmp_gt_u32_e32 vcc_lo, 4, v6
	s_delay_alu instid0(VALU_DEP_2) | instskip(NEXT) | instid1(VALU_DEP_1)
	v_lshlrev_b32_e32 v3, 1, v3
	v_add_lshl_u32 v4, v3, v5, 2
	ds_bpermute_b32 v3, v4, v1
	ds_bpermute_b32 v4, v4, v2
	s_wait_dscnt 0x0
	v_add_f64_e32 v[1:2], v[1:2], v[3:4]
	s_wait_alu 0xfffd
	v_cndmask_b32_e64 v3, 0, 1, vcc_lo
	s_delay_alu instid0(VALU_DEP_1) | instskip(NEXT) | instid1(VALU_DEP_1)
	v_lshlrev_b32_e32 v3, 2, v3
	v_add_lshl_u32 v4, v3, v5, 2
	ds_bpermute_b32 v3, v4, v1
	ds_bpermute_b32 v4, v4, v2
	s_wait_dscnt 0x0
	v_add_f64_e32 v[1:2], v[1:2], v[3:4]
.LBB18_5:
	s_or_b32 exec_lo, exec_lo, s12
	s_branch .LBB18_30
.LBB18_6:
                                        ; implicit-def: $vgpr1_vgpr2
	s_cbranch_execz .LBB18_30
; %bb.7:
	s_sub_co_i32 s12, s4, s10
	s_mov_b32 s13, exec_lo
                                        ; implicit-def: $vgpr1_vgpr2
	v_cmpx_gt_u32_e64 s12, v0
	s_cbranch_execz .LBB18_9
; %bb.8:
	v_lshlrev_b32_e32 v1, 3, v0
	s_lshl_b64 s[10:11], s[10:11], 3
	s_delay_alu instid0(SALU_CYCLE_1)
	s_add_nc_u64 s[8:9], s[8:9], s[10:11]
	global_load_b64 v[1:2], v1, s[8:9]
	s_wait_loadcnt 0x0
	v_and_b32_e32 v2, 0x7fffffff, v2
.LBB18_9:
	s_or_b32 exec_lo, exec_lo, s13
	v_cmp_ne_u32_e32 vcc_lo, 31, v5
	v_and_b32_e32 v6, 0xe0, v0
	s_min_u32 s8, s12, 0x100
	v_add_nc_u32_e32 v7, 1, v5
	s_mov_b32 s9, exec_lo
	v_add_co_ci_u32_e32 v3, vcc_lo, 0, v5, vcc_lo
	v_sub_nc_u32_e64 v6, s8, v6 clamp
	s_delay_alu instid0(VALU_DEP_2)
	v_lshlrev_b32_e32 v4, 2, v3
	ds_bpermute_b32 v3, v4, v1
	ds_bpermute_b32 v4, v4, v2
	v_cmpx_lt_u32_e64 v7, v6
	s_cbranch_execz .LBB18_11
; %bb.10:
	s_wait_dscnt 0x0
	v_add_f64_e32 v[1:2], v[1:2], v[3:4]
.LBB18_11:
	s_or_b32 exec_lo, exec_lo, s9
	v_cmp_gt_u32_e32 vcc_lo, 30, v5
	v_add_nc_u32_e32 v7, 2, v5
	s_mov_b32 s9, exec_lo
	s_wait_dscnt 0x1
	s_wait_alu 0xfffd
	v_cndmask_b32_e64 v3, 0, 1, vcc_lo
	s_delay_alu instid0(VALU_DEP_1) | instskip(SKIP_1) | instid1(VALU_DEP_1)
	v_lshlrev_b32_e32 v3, 1, v3
	s_wait_dscnt 0x0
	v_add_lshl_u32 v4, v3, v5, 2
	ds_bpermute_b32 v3, v4, v1
	ds_bpermute_b32 v4, v4, v2
	v_cmpx_lt_u32_e64 v7, v6
	s_cbranch_execz .LBB18_13
; %bb.12:
	s_wait_dscnt 0x0
	v_add_f64_e32 v[1:2], v[1:2], v[3:4]
.LBB18_13:
	s_wait_alu 0xfffe
	s_or_b32 exec_lo, exec_lo, s9
	v_cmp_gt_u32_e32 vcc_lo, 28, v5
	v_add_nc_u32_e32 v7, 4, v5
	s_mov_b32 s9, exec_lo
	s_wait_dscnt 0x1
	s_wait_alu 0xfffd
	v_cndmask_b32_e64 v3, 0, 1, vcc_lo
	s_delay_alu instid0(VALU_DEP_1) | instskip(SKIP_1) | instid1(VALU_DEP_1)
	v_lshlrev_b32_e32 v3, 2, v3
	s_wait_dscnt 0x0
	v_add_lshl_u32 v4, v3, v5, 2
	ds_bpermute_b32 v3, v4, v1
	ds_bpermute_b32 v4, v4, v2
	v_cmpx_lt_u32_e64 v7, v6
	s_cbranch_execz .LBB18_15
; %bb.14:
	s_wait_dscnt 0x0
	v_add_f64_e32 v[1:2], v[1:2], v[3:4]
.LBB18_15:
	s_wait_alu 0xfffe
	;; [unrolled: 20-line block ×4, first 2 shown]
	s_or_b32 exec_lo, exec_lo, s9
	s_delay_alu instid0(SALU_CYCLE_1)
	s_mov_b32 s9, exec_lo
	v_cmpx_eq_u32_e32 0, v5
	s_cbranch_execz .LBB18_21
; %bb.20:
	s_wait_dscnt 0x1
	v_lshrrev_b32_e32 v3, 2, v0
	s_delay_alu instid0(VALU_DEP_1)
	v_and_b32_e32 v3, 56, v3
	ds_store_b64 v3, v[1:2] offset:64
.LBB18_21:
	s_wait_alu 0xfffe
	s_or_b32 exec_lo, exec_lo, s9
	s_delay_alu instid0(SALU_CYCLE_1)
	s_mov_b32 s9, exec_lo
	global_wb scope:SCOPE_SE
	s_wait_dscnt 0x0
	s_barrier_signal -1
	s_barrier_wait -1
	global_inv scope:SCOPE_SE
	v_cmpx_gt_u32_e32 8, v0
	s_cbranch_execz .LBB18_29
; %bb.22:
	v_lshlrev_b32_e32 v1, 3, v5
	v_and_b32_e32 v6, 7, v5
	s_add_co_i32 s8, s8, 31
	s_mov_b32 s10, exec_lo
	s_wait_alu 0xfffe
	s_lshr_b32 s8, s8, 5
	ds_load_b64 v[1:2], v1 offset:64
	v_cmp_ne_u32_e32 vcc_lo, 7, v6
	v_add_nc_u32_e32 v7, 1, v6
	s_wait_alu 0xfffd
	v_add_co_ci_u32_e32 v3, vcc_lo, 0, v5, vcc_lo
	s_delay_alu instid0(VALU_DEP_1)
	v_lshlrev_b32_e32 v4, 2, v3
	s_wait_dscnt 0x0
	ds_bpermute_b32 v3, v4, v1
	ds_bpermute_b32 v4, v4, v2
	s_wait_alu 0xfffe
	v_cmpx_gt_u32_e64 s8, v7
	s_cbranch_execz .LBB18_24
; %bb.23:
	s_wait_dscnt 0x0
	v_add_f64_e32 v[1:2], v[1:2], v[3:4]
.LBB18_24:
	s_or_b32 exec_lo, exec_lo, s10
	v_cmp_gt_u32_e32 vcc_lo, 6, v6
	v_add_nc_u32_e32 v7, 2, v6
	s_mov_b32 s10, exec_lo
	s_wait_dscnt 0x1
	s_wait_alu 0xfffd
	v_cndmask_b32_e64 v3, 0, 1, vcc_lo
	s_delay_alu instid0(VALU_DEP_1) | instskip(SKIP_1) | instid1(VALU_DEP_1)
	v_lshlrev_b32_e32 v3, 1, v3
	s_wait_dscnt 0x0
	v_add_lshl_u32 v4, v3, v5, 2
	ds_bpermute_b32 v3, v4, v1
	ds_bpermute_b32 v4, v4, v2
	v_cmpx_gt_u32_e64 s8, v7
	s_cbranch_execz .LBB18_26
; %bb.25:
	s_wait_dscnt 0x0
	v_add_f64_e32 v[1:2], v[1:2], v[3:4]
.LBB18_26:
	s_or_b32 exec_lo, exec_lo, s10
	v_cmp_gt_u32_e32 vcc_lo, 4, v6
	s_wait_dscnt 0x1
	s_wait_alu 0xfffd
	v_cndmask_b32_e64 v3, 0, 1, vcc_lo
	s_delay_alu instid0(VALU_DEP_1) | instskip(SKIP_1) | instid1(VALU_DEP_1)
	v_lshlrev_b32_e32 v3, 2, v3
	s_wait_dscnt 0x0
	v_add_lshl_u32 v4, v3, v5, 2
	v_add_nc_u32_e32 v5, 4, v6
	ds_bpermute_b32 v3, v4, v1
	ds_bpermute_b32 v4, v4, v2
	v_cmp_gt_u32_e32 vcc_lo, s8, v5
	s_and_saveexec_b32 s8, vcc_lo
	s_cbranch_execz .LBB18_28
; %bb.27:
	s_wait_dscnt 0x0
	v_add_f64_e32 v[1:2], v[1:2], v[3:4]
.LBB18_28:
	s_wait_alu 0xfffe
	s_or_b32 exec_lo, exec_lo, s8
.LBB18_29:
	s_wait_alu 0xfffe
	s_or_b32 exec_lo, exec_lo, s9
.LBB18_30:
	s_delay_alu instid0(SALU_CYCLE_1)
	s_mov_b32 s8, exec_lo
	v_cmpx_eq_u32_e32 0, v0
	s_cbranch_execz .LBB18_32
; %bb.31:
	s_delay_alu instid0(VALU_DEP_2)
	v_add_f64_e32 v[0:1], s[0:1], v[1:2]
	s_lshl_b64 s[2:3], s[2:3], 3
	s_cmp_eq_u64 s[4:5], 0
	v_mov_b32_e32 v2, 0
	s_cselect_b32 s4, -1, 0
	s_delay_alu instid0(VALU_DEP_2) | instid1(SALU_CYCLE_1)
	v_cndmask_b32_e64 v1, v1, s1, s4
	s_delay_alu instid0(VALU_DEP_3)
	v_cndmask_b32_e64 v0, v0, s0, s4
	s_add_nc_u64 s[0:1], s[6:7], s[2:3]
	global_store_b64 v2, v[0:1], s[0:1]
.LBB18_32:
	s_nop 0
	s_sendmsg sendmsg(MSG_DEALLOC_VGPRS)
	s_endpgm
	.section	.rodata,"a",@progbits
	.p2align	6, 0x0
	.amdhsa_kernel _ZN7rocprim6detail19block_reduce_kernelILb1ELb0ELj16ENS0_21wrapped_reduce_configINS_14default_configEdEEdN6thrust11hip_rocprim26transform_input_iterator_tIdNS5_6detail15normal_iteratorINS5_10device_ptrIdEEEEZ4mainEUldE_EEPddNS5_4plusIdEEEEvT4_mT5_T6_T7_
		.amdhsa_group_segment_fixed_size 128
		.amdhsa_private_segment_fixed_size 0
		.amdhsa_kernarg_size 44
		.amdhsa_user_sgpr_count 2
		.amdhsa_user_sgpr_dispatch_ptr 0
		.amdhsa_user_sgpr_queue_ptr 0
		.amdhsa_user_sgpr_kernarg_segment_ptr 1
		.amdhsa_user_sgpr_dispatch_id 0
		.amdhsa_user_sgpr_private_segment_size 0
		.amdhsa_wavefront_size32 1
		.amdhsa_uses_dynamic_stack 0
		.amdhsa_enable_private_segment 0
		.amdhsa_system_sgpr_workgroup_id_x 1
		.amdhsa_system_sgpr_workgroup_id_y 0
		.amdhsa_system_sgpr_workgroup_id_z 0
		.amdhsa_system_sgpr_workgroup_info 0
		.amdhsa_system_vgpr_workitem_id 0
		.amdhsa_next_free_vgpr 8
		.amdhsa_next_free_sgpr 14
		.amdhsa_reserve_vcc 1
		.amdhsa_float_round_mode_32 0
		.amdhsa_float_round_mode_16_64 0
		.amdhsa_float_denorm_mode_32 3
		.amdhsa_float_denorm_mode_16_64 3
		.amdhsa_fp16_overflow 0
		.amdhsa_workgroup_processor_mode 1
		.amdhsa_memory_ordered 1
		.amdhsa_forward_progress 0
		.amdhsa_round_robin_scheduling 0
		.amdhsa_exception_fp_ieee_invalid_op 0
		.amdhsa_exception_fp_denorm_src 0
		.amdhsa_exception_fp_ieee_div_zero 0
		.amdhsa_exception_fp_ieee_overflow 0
		.amdhsa_exception_fp_ieee_underflow 0
		.amdhsa_exception_fp_ieee_inexact 0
		.amdhsa_exception_int_div_zero 0
	.end_amdhsa_kernel
	.section	.text._ZN7rocprim6detail19block_reduce_kernelILb1ELb0ELj16ENS0_21wrapped_reduce_configINS_14default_configEdEEdN6thrust11hip_rocprim26transform_input_iterator_tIdNS5_6detail15normal_iteratorINS5_10device_ptrIdEEEEZ4mainEUldE_EEPddNS5_4plusIdEEEEvT4_mT5_T6_T7_,"axG",@progbits,_ZN7rocprim6detail19block_reduce_kernelILb1ELb0ELj16ENS0_21wrapped_reduce_configINS_14default_configEdEEdN6thrust11hip_rocprim26transform_input_iterator_tIdNS5_6detail15normal_iteratorINS5_10device_ptrIdEEEEZ4mainEUldE_EEPddNS5_4plusIdEEEEvT4_mT5_T6_T7_,comdat
.Lfunc_end18:
	.size	_ZN7rocprim6detail19block_reduce_kernelILb1ELb0ELj16ENS0_21wrapped_reduce_configINS_14default_configEdEEdN6thrust11hip_rocprim26transform_input_iterator_tIdNS5_6detail15normal_iteratorINS5_10device_ptrIdEEEEZ4mainEUldE_EEPddNS5_4plusIdEEEEvT4_mT5_T6_T7_, .Lfunc_end18-_ZN7rocprim6detail19block_reduce_kernelILb1ELb0ELj16ENS0_21wrapped_reduce_configINS_14default_configEdEEdN6thrust11hip_rocprim26transform_input_iterator_tIdNS5_6detail15normal_iteratorINS5_10device_ptrIdEEEEZ4mainEUldE_EEPddNS5_4plusIdEEEEvT4_mT5_T6_T7_
                                        ; -- End function
	.section	.AMDGPU.csdata,"",@progbits
; Kernel info:
; codeLenInByte = 1540
; NumSgprs: 16
; NumVgprs: 8
; ScratchSize: 0
; MemoryBound: 0
; FloatMode: 240
; IeeeMode: 1
; LDSByteSize: 128 bytes/workgroup (compile time only)
; SGPRBlocks: 1
; VGPRBlocks: 0
; NumSGPRsForWavesPerEU: 16
; NumVGPRsForWavesPerEU: 8
; Occupancy: 16
; WaveLimiterHint : 0
; COMPUTE_PGM_RSRC2:SCRATCH_EN: 0
; COMPUTE_PGM_RSRC2:USER_SGPR: 2
; COMPUTE_PGM_RSRC2:TRAP_HANDLER: 0
; COMPUTE_PGM_RSRC2:TGID_X_EN: 1
; COMPUTE_PGM_RSRC2:TGID_Y_EN: 0
; COMPUTE_PGM_RSRC2:TGID_Z_EN: 0
; COMPUTE_PGM_RSRC2:TIDIG_COMP_CNT: 0
	.section	.text._ZN7rocprim6detail19block_reduce_kernelILb1ELb0ELj8ENS0_21wrapped_reduce_configINS_14default_configEdEEdN6thrust11hip_rocprim26transform_input_iterator_tIdNS5_6detail15normal_iteratorINS5_10device_ptrIdEEEEZ4mainEUldE_EEPddNS5_4plusIdEEEEvT4_mT5_T6_T7_,"axG",@progbits,_ZN7rocprim6detail19block_reduce_kernelILb1ELb0ELj8ENS0_21wrapped_reduce_configINS_14default_configEdEEdN6thrust11hip_rocprim26transform_input_iterator_tIdNS5_6detail15normal_iteratorINS5_10device_ptrIdEEEEZ4mainEUldE_EEPddNS5_4plusIdEEEEvT4_mT5_T6_T7_,comdat
	.globl	_ZN7rocprim6detail19block_reduce_kernelILb1ELb0ELj8ENS0_21wrapped_reduce_configINS_14default_configEdEEdN6thrust11hip_rocprim26transform_input_iterator_tIdNS5_6detail15normal_iteratorINS5_10device_ptrIdEEEEZ4mainEUldE_EEPddNS5_4plusIdEEEEvT4_mT5_T6_T7_ ; -- Begin function _ZN7rocprim6detail19block_reduce_kernelILb1ELb0ELj8ENS0_21wrapped_reduce_configINS_14default_configEdEEdN6thrust11hip_rocprim26transform_input_iterator_tIdNS5_6detail15normal_iteratorINS5_10device_ptrIdEEEEZ4mainEUldE_EEPddNS5_4plusIdEEEEvT4_mT5_T6_T7_
	.p2align	8
	.type	_ZN7rocprim6detail19block_reduce_kernelILb1ELb0ELj8ENS0_21wrapped_reduce_configINS_14default_configEdEEdN6thrust11hip_rocprim26transform_input_iterator_tIdNS5_6detail15normal_iteratorINS5_10device_ptrIdEEEEZ4mainEUldE_EEPddNS5_4plusIdEEEEvT4_mT5_T6_T7_,@function
_ZN7rocprim6detail19block_reduce_kernelILb1ELb0ELj8ENS0_21wrapped_reduce_configINS_14default_configEdEEdN6thrust11hip_rocprim26transform_input_iterator_tIdNS5_6detail15normal_iteratorINS5_10device_ptrIdEEEEZ4mainEUldE_EEPddNS5_4plusIdEEEEvT4_mT5_T6_T7_: ; @_ZN7rocprim6detail19block_reduce_kernelILb1ELb0ELj8ENS0_21wrapped_reduce_configINS_14default_configEdEEdN6thrust11hip_rocprim26transform_input_iterator_tIdNS5_6detail15normal_iteratorINS5_10device_ptrIdEEEEZ4mainEUldE_EEPddNS5_4plusIdEEEEvT4_mT5_T6_T7_
; %bb.0:
	s_clause 0x2
	s_load_b128 s[4:7], s[0:1], 0x10
	s_load_b64 s[10:11], s[0:1], 0x0
	s_load_b64 s[2:3], s[0:1], 0x20
	s_mov_b32 s1, 0
	s_lshl_b32 s0, ttmp9, 9
	v_lshlrev_b32_e32 v1, 3, v0
	s_lshl_b64 s[12:13], s[0:1], 3
	s_mov_b32 s9, s1
	v_mbcnt_lo_u32_b32 v7, -1, 0
	s_mov_b32 s8, ttmp9
	s_wait_kmcnt 0x0
	s_lshr_b64 s[14:15], s[4:5], 9
	s_add_nc_u64 s[10:11], s[10:11], s[12:13]
	s_cmp_lg_u64 s[14:15], s[8:9]
	v_add_co_u32 v5, s1, s10, v1
	s_delay_alu instid0(VALU_DEP_1)
	v_add_co_ci_u32_e64 v6, null, s11, 0, s1
	s_cbranch_scc0 .LBB19_6
; %bb.1:
	s_clause 0x1
	global_load_b64 v[1:2], v[5:6], off
	global_load_b64 v[3:4], v[5:6], off offset:2048
	s_mov_b32 s1, exec_lo
	s_wait_loadcnt 0x0
	v_add_f64_e64 v[1:2], |v[1:2]|, |v[3:4]|
	s_delay_alu instid0(VALU_DEP_1) | instskip(NEXT) | instid1(VALU_DEP_2)
	v_mov_b32_dpp v3, v1 quad_perm:[1,0,3,2] row_mask:0xf bank_mask:0xf
	v_mov_b32_dpp v4, v2 quad_perm:[1,0,3,2] row_mask:0xf bank_mask:0xf
	s_delay_alu instid0(VALU_DEP_1) | instskip(NEXT) | instid1(VALU_DEP_1)
	v_add_f64_e32 v[1:2], v[1:2], v[3:4]
	v_mov_b32_dpp v3, v1 quad_perm:[2,3,0,1] row_mask:0xf bank_mask:0xf
	s_delay_alu instid0(VALU_DEP_2) | instskip(NEXT) | instid1(VALU_DEP_1)
	v_mov_b32_dpp v4, v2 quad_perm:[2,3,0,1] row_mask:0xf bank_mask:0xf
	v_add_f64_e32 v[1:2], v[1:2], v[3:4]
	s_delay_alu instid0(VALU_DEP_1) | instskip(NEXT) | instid1(VALU_DEP_2)
	v_mov_b32_dpp v3, v1 row_ror:4 row_mask:0xf bank_mask:0xf
	v_mov_b32_dpp v4, v2 row_ror:4 row_mask:0xf bank_mask:0xf
	s_delay_alu instid0(VALU_DEP_1) | instskip(NEXT) | instid1(VALU_DEP_1)
	v_add_f64_e32 v[1:2], v[1:2], v[3:4]
	v_mov_b32_dpp v3, v1 row_ror:8 row_mask:0xf bank_mask:0xf
	s_delay_alu instid0(VALU_DEP_2) | instskip(NEXT) | instid1(VALU_DEP_1)
	v_mov_b32_dpp v4, v2 row_ror:8 row_mask:0xf bank_mask:0xf
	v_add_f64_e32 v[1:2], v[1:2], v[3:4]
	ds_swizzle_b32 v3, v1 offset:swizzle(BROADCAST,32,15)
	ds_swizzle_b32 v4, v2 offset:swizzle(BROADCAST,32,15)
	s_wait_dscnt 0x0
	v_add_f64_e32 v[1:2], v[1:2], v[3:4]
	v_mov_b32_e32 v3, 0
	ds_bpermute_b32 v1, v3, v1 offset:124
	ds_bpermute_b32 v2, v3, v2 offset:124
	v_cmpx_eq_u32_e32 0, v7
	s_cbranch_execz .LBB19_3
; %bb.2:
	v_lshrrev_b32_e32 v3, 2, v0
	s_delay_alu instid0(VALU_DEP_1)
	v_and_b32_e32 v3, 56, v3
	s_wait_dscnt 0x0
	ds_store_b64 v3, v[1:2]
.LBB19_3:
	s_wait_alu 0xfffe
	s_or_b32 exec_lo, exec_lo, s1
	s_delay_alu instid0(SALU_CYCLE_1)
	s_mov_b32 s1, exec_lo
	global_wb scope:SCOPE_SE
	s_wait_dscnt 0x0
	s_barrier_signal -1
	s_barrier_wait -1
	global_inv scope:SCOPE_SE
	v_cmpx_gt_u32_e32 32, v0
	s_cbranch_execz .LBB19_5
; %bb.4:
	v_and_b32_e32 v8, 7, v7
	s_delay_alu instid0(VALU_DEP_1) | instskip(SKIP_4) | instid1(VALU_DEP_2)
	v_lshlrev_b32_e32 v1, 3, v8
	v_cmp_ne_u32_e32 vcc_lo, 7, v8
	ds_load_b64 v[1:2], v1
	v_add_co_ci_u32_e32 v3, vcc_lo, 0, v7, vcc_lo
	v_cmp_gt_u32_e32 vcc_lo, 6, v8
	v_lshlrev_b32_e32 v4, 2, v3
	s_wait_dscnt 0x0
	ds_bpermute_b32 v3, v4, v1
	ds_bpermute_b32 v4, v4, v2
	s_wait_dscnt 0x0
	v_add_f64_e32 v[1:2], v[1:2], v[3:4]
	s_wait_alu 0xfffd
	v_cndmask_b32_e64 v3, 0, 1, vcc_lo
	v_cmp_gt_u32_e32 vcc_lo, 4, v8
	s_delay_alu instid0(VALU_DEP_2) | instskip(NEXT) | instid1(VALU_DEP_1)
	v_lshlrev_b32_e32 v3, 1, v3
	v_add_lshl_u32 v4, v3, v7, 2
	ds_bpermute_b32 v3, v4, v1
	ds_bpermute_b32 v4, v4, v2
	s_wait_dscnt 0x0
	v_add_f64_e32 v[1:2], v[1:2], v[3:4]
	s_wait_alu 0xfffd
	v_cndmask_b32_e64 v3, 0, 1, vcc_lo
	s_delay_alu instid0(VALU_DEP_1) | instskip(NEXT) | instid1(VALU_DEP_1)
	v_lshlrev_b32_e32 v3, 2, v3
	v_add_lshl_u32 v4, v3, v7, 2
	ds_bpermute_b32 v3, v4, v1
	ds_bpermute_b32 v4, v4, v2
	s_wait_dscnt 0x0
	v_add_f64_e32 v[1:2], v[1:2], v[3:4]
.LBB19_5:
	s_wait_alu 0xfffe
	s_or_b32 exec_lo, exec_lo, s1
	s_branch .LBB19_32
.LBB19_6:
                                        ; implicit-def: $vgpr1_vgpr2
	s_cbranch_execz .LBB19_32
; %bb.7:
	s_sub_co_i32 s1, s4, s0
	s_mov_b32 s0, exec_lo
                                        ; implicit-def: $vgpr1_vgpr2_vgpr3_vgpr4
	s_wait_alu 0xfffe
	v_cmpx_gt_u32_e64 s1, v0
	s_cbranch_execz .LBB19_9
; %bb.8:
	global_load_b64 v[1:2], v[5:6], off
	s_wait_loadcnt 0x0
	v_and_b32_e32 v2, 0x7fffffff, v2
.LBB19_9:
	s_or_b32 exec_lo, exec_lo, s0
	v_or_b32_e32 v8, 0x100, v0
	s_delay_alu instid0(VALU_DEP_1)
	v_cmp_gt_u32_e32 vcc_lo, s1, v8
	s_and_saveexec_b32 s0, vcc_lo
	s_cbranch_execz .LBB19_11
; %bb.10:
	global_load_b64 v[3:4], v[5:6], off offset:2048
	s_wait_loadcnt 0x0
	v_and_b32_e32 v4, 0x7fffffff, v4
.LBB19_11:
	s_wait_alu 0xfffe
	s_or_b32 exec_lo, exec_lo, s0
	s_delay_alu instid0(VALU_DEP_1) | instskip(SKIP_3) | instid1(VALU_DEP_2)
	v_add_f64_e32 v[3:4], v[1:2], v[3:4]
	v_cmp_ne_u32_e64 s0, 31, v7
	v_add_nc_u32_e32 v6, 1, v7
	s_wait_alu 0xf1ff
	v_add_co_ci_u32_e64 v5, s0, 0, v7, s0
	s_min_u32 s0, s1, 0x100
	s_mov_b32 s1, exec_lo
	s_delay_alu instid0(VALU_DEP_1)
	v_dual_cndmask_b32 v2, v2, v4 :: v_dual_lshlrev_b32 v5, 2, v5
	v_cndmask_b32_e32 v1, v1, v3, vcc_lo
	ds_bpermute_b32 v4, v5, v2
	ds_bpermute_b32 v3, v5, v1
	v_and_b32_e32 v5, 0xe0, v0
	s_wait_alu 0xfffe
	s_delay_alu instid0(VALU_DEP_1) | instskip(NEXT) | instid1(VALU_DEP_1)
	v_sub_nc_u32_e64 v5, s0, v5 clamp
	v_cmpx_lt_u32_e64 v6, v5
	s_cbranch_execz .LBB19_13
; %bb.12:
	s_wait_dscnt 0x0
	v_add_f64_e32 v[1:2], v[1:2], v[3:4]
.LBB19_13:
	s_or_b32 exec_lo, exec_lo, s1
	v_cmp_gt_u32_e32 vcc_lo, 30, v7
	v_add_nc_u32_e32 v6, 2, v7
	s_mov_b32 s1, exec_lo
	s_wait_dscnt 0x0
	s_wait_alu 0xfffd
	v_cndmask_b32_e64 v3, 0, 1, vcc_lo
	s_delay_alu instid0(VALU_DEP_1) | instskip(NEXT) | instid1(VALU_DEP_1)
	v_lshlrev_b32_e32 v3, 1, v3
	v_add_lshl_u32 v4, v3, v7, 2
	ds_bpermute_b32 v3, v4, v1
	ds_bpermute_b32 v4, v4, v2
	v_cmpx_lt_u32_e64 v6, v5
	s_cbranch_execz .LBB19_15
; %bb.14:
	s_wait_dscnt 0x0
	v_add_f64_e32 v[1:2], v[1:2], v[3:4]
.LBB19_15:
	s_wait_alu 0xfffe
	s_or_b32 exec_lo, exec_lo, s1
	v_cmp_gt_u32_e32 vcc_lo, 28, v7
	v_add_nc_u32_e32 v6, 4, v7
	s_mov_b32 s1, exec_lo
	s_wait_dscnt 0x1
	s_wait_alu 0xfffd
	v_cndmask_b32_e64 v3, 0, 1, vcc_lo
	s_delay_alu instid0(VALU_DEP_1) | instskip(SKIP_1) | instid1(VALU_DEP_1)
	v_lshlrev_b32_e32 v3, 2, v3
	s_wait_dscnt 0x0
	v_add_lshl_u32 v4, v3, v7, 2
	ds_bpermute_b32 v3, v4, v1
	ds_bpermute_b32 v4, v4, v2
	v_cmpx_lt_u32_e64 v6, v5
	s_cbranch_execz .LBB19_17
; %bb.16:
	s_wait_dscnt 0x0
	v_add_f64_e32 v[1:2], v[1:2], v[3:4]
.LBB19_17:
	s_wait_alu 0xfffe
	s_or_b32 exec_lo, exec_lo, s1
	v_cmp_gt_u32_e32 vcc_lo, 24, v7
	v_add_nc_u32_e32 v6, 8, v7
	s_mov_b32 s1, exec_lo
	s_wait_dscnt 0x1
	s_wait_alu 0xfffd
	v_cndmask_b32_e64 v3, 0, 1, vcc_lo
	s_delay_alu instid0(VALU_DEP_1) | instskip(SKIP_1) | instid1(VALU_DEP_1)
	v_lshlrev_b32_e32 v3, 3, v3
	s_wait_dscnt 0x0
	v_add_lshl_u32 v4, v3, v7, 2
	ds_bpermute_b32 v3, v4, v1
	ds_bpermute_b32 v4, v4, v2
	v_cmpx_lt_u32_e64 v6, v5
	s_cbranch_execz .LBB19_19
; %bb.18:
	s_wait_dscnt 0x0
	v_add_f64_e32 v[1:2], v[1:2], v[3:4]
.LBB19_19:
	s_wait_alu 0xfffe
	s_or_b32 exec_lo, exec_lo, s1
	v_cmp_gt_u32_e32 vcc_lo, 16, v7
	v_add_nc_u32_e32 v6, 16, v7
	s_mov_b32 s1, exec_lo
	s_wait_dscnt 0x1
	s_wait_alu 0xfffd
	v_cndmask_b32_e64 v3, 0, 1, vcc_lo
	s_delay_alu instid0(VALU_DEP_1) | instskip(SKIP_1) | instid1(VALU_DEP_1)
	v_lshlrev_b32_e32 v3, 4, v3
	s_wait_dscnt 0x0
	v_add_lshl_u32 v4, v3, v7, 2
	ds_bpermute_b32 v3, v4, v1
	ds_bpermute_b32 v4, v4, v2
	v_cmpx_lt_u32_e64 v6, v5
	s_cbranch_execz .LBB19_21
; %bb.20:
	s_wait_dscnt 0x0
	v_add_f64_e32 v[1:2], v[1:2], v[3:4]
.LBB19_21:
	s_wait_alu 0xfffe
	s_or_b32 exec_lo, exec_lo, s1
	s_delay_alu instid0(SALU_CYCLE_1)
	s_mov_b32 s1, exec_lo
	v_cmpx_eq_u32_e32 0, v7
	s_cbranch_execz .LBB19_23
; %bb.22:
	s_wait_dscnt 0x1
	v_lshrrev_b32_e32 v3, 2, v0
	s_delay_alu instid0(VALU_DEP_1)
	v_and_b32_e32 v3, 56, v3
	ds_store_b64 v3, v[1:2] offset:64
.LBB19_23:
	s_wait_alu 0xfffe
	s_or_b32 exec_lo, exec_lo, s1
	s_delay_alu instid0(SALU_CYCLE_1)
	s_mov_b32 s1, exec_lo
	global_wb scope:SCOPE_SE
	s_wait_dscnt 0x0
	s_barrier_signal -1
	s_barrier_wait -1
	global_inv scope:SCOPE_SE
	v_cmpx_gt_u32_e32 8, v0
	s_cbranch_execz .LBB19_31
; %bb.24:
	v_lshlrev_b32_e32 v1, 3, v7
	v_and_b32_e32 v5, 7, v7
	s_add_co_i32 s0, s0, 31
	s_mov_b32 s10, exec_lo
	s_wait_alu 0xfffe
	s_lshr_b32 s0, s0, 5
	ds_load_b64 v[1:2], v1 offset:64
	v_cmp_ne_u32_e32 vcc_lo, 7, v5
	v_add_nc_u32_e32 v6, 1, v5
	s_wait_alu 0xfffd
	v_add_co_ci_u32_e32 v3, vcc_lo, 0, v7, vcc_lo
	s_delay_alu instid0(VALU_DEP_1)
	v_lshlrev_b32_e32 v4, 2, v3
	s_wait_dscnt 0x0
	ds_bpermute_b32 v3, v4, v1
	ds_bpermute_b32 v4, v4, v2
	s_wait_alu 0xfffe
	v_cmpx_gt_u32_e64 s0, v6
	s_cbranch_execz .LBB19_26
; %bb.25:
	s_wait_dscnt 0x0
	v_add_f64_e32 v[1:2], v[1:2], v[3:4]
.LBB19_26:
	s_or_b32 exec_lo, exec_lo, s10
	v_cmp_gt_u32_e32 vcc_lo, 6, v5
	v_add_nc_u32_e32 v6, 2, v5
	s_mov_b32 s10, exec_lo
	s_wait_dscnt 0x1
	s_wait_alu 0xfffd
	v_cndmask_b32_e64 v3, 0, 1, vcc_lo
	s_delay_alu instid0(VALU_DEP_1) | instskip(SKIP_1) | instid1(VALU_DEP_1)
	v_lshlrev_b32_e32 v3, 1, v3
	s_wait_dscnt 0x0
	v_add_lshl_u32 v4, v3, v7, 2
	ds_bpermute_b32 v3, v4, v1
	ds_bpermute_b32 v4, v4, v2
	v_cmpx_gt_u32_e64 s0, v6
	s_cbranch_execz .LBB19_28
; %bb.27:
	s_wait_dscnt 0x0
	v_add_f64_e32 v[1:2], v[1:2], v[3:4]
.LBB19_28:
	s_wait_alu 0xfffe
	s_or_b32 exec_lo, exec_lo, s10
	v_cmp_gt_u32_e32 vcc_lo, 4, v5
	v_add_nc_u32_e32 v5, 4, v5
	s_wait_dscnt 0x1
	s_wait_alu 0xfffd
	v_cndmask_b32_e64 v3, 0, 1, vcc_lo
	s_delay_alu instid0(VALU_DEP_2) | instskip(NEXT) | instid1(VALU_DEP_2)
	v_cmp_gt_u32_e32 vcc_lo, s0, v5
	v_lshlrev_b32_e32 v3, 2, v3
	s_wait_dscnt 0x0
	s_delay_alu instid0(VALU_DEP_1)
	v_add_lshl_u32 v4, v3, v7, 2
	ds_bpermute_b32 v3, v4, v1
	ds_bpermute_b32 v4, v4, v2
	s_and_saveexec_b32 s0, vcc_lo
	s_cbranch_execz .LBB19_30
; %bb.29:
	s_wait_dscnt 0x0
	v_add_f64_e32 v[1:2], v[1:2], v[3:4]
.LBB19_30:
	s_wait_alu 0xfffe
	s_or_b32 exec_lo, exec_lo, s0
.LBB19_31:
	s_wait_alu 0xfffe
	s_or_b32 exec_lo, exec_lo, s1
.LBB19_32:
	s_delay_alu instid0(SALU_CYCLE_1)
	s_mov_b32 s0, exec_lo
	v_cmpx_eq_u32_e32 0, v0
	s_cbranch_execz .LBB19_34
; %bb.33:
	s_delay_alu instid0(VALU_DEP_2)
	v_add_f64_e32 v[0:1], s[2:3], v[1:2]
	s_lshl_b64 s[0:1], s[8:9], 3
	s_cmp_eq_u64 s[4:5], 0
	v_mov_b32_e32 v2, 0
	s_cselect_b32 s4, -1, 0
	s_wait_alu 0xfffe
	s_add_nc_u64 s[0:1], s[6:7], s[0:1]
	s_delay_alu instid0(VALU_DEP_2) | instskip(NEXT) | instid1(VALU_DEP_3)
	v_cndmask_b32_e64 v1, v1, s3, s4
	v_cndmask_b32_e64 v0, v0, s2, s4
	global_store_b64 v2, v[0:1], s[0:1]
.LBB19_34:
	s_nop 0
	s_sendmsg sendmsg(MSG_DEALLOC_VGPRS)
	s_endpgm
	.section	.rodata,"a",@progbits
	.p2align	6, 0x0
	.amdhsa_kernel _ZN7rocprim6detail19block_reduce_kernelILb1ELb0ELj8ENS0_21wrapped_reduce_configINS_14default_configEdEEdN6thrust11hip_rocprim26transform_input_iterator_tIdNS5_6detail15normal_iteratorINS5_10device_ptrIdEEEEZ4mainEUldE_EEPddNS5_4plusIdEEEEvT4_mT5_T6_T7_
		.amdhsa_group_segment_fixed_size 128
		.amdhsa_private_segment_fixed_size 0
		.amdhsa_kernarg_size 44
		.amdhsa_user_sgpr_count 2
		.amdhsa_user_sgpr_dispatch_ptr 0
		.amdhsa_user_sgpr_queue_ptr 0
		.amdhsa_user_sgpr_kernarg_segment_ptr 1
		.amdhsa_user_sgpr_dispatch_id 0
		.amdhsa_user_sgpr_private_segment_size 0
		.amdhsa_wavefront_size32 1
		.amdhsa_uses_dynamic_stack 0
		.amdhsa_enable_private_segment 0
		.amdhsa_system_sgpr_workgroup_id_x 1
		.amdhsa_system_sgpr_workgroup_id_y 0
		.amdhsa_system_sgpr_workgroup_id_z 0
		.amdhsa_system_sgpr_workgroup_info 0
		.amdhsa_system_vgpr_workitem_id 0
		.amdhsa_next_free_vgpr 9
		.amdhsa_next_free_sgpr 16
		.amdhsa_reserve_vcc 1
		.amdhsa_float_round_mode_32 0
		.amdhsa_float_round_mode_16_64 0
		.amdhsa_float_denorm_mode_32 3
		.amdhsa_float_denorm_mode_16_64 3
		.amdhsa_fp16_overflow 0
		.amdhsa_workgroup_processor_mode 1
		.amdhsa_memory_ordered 1
		.amdhsa_forward_progress 0
		.amdhsa_round_robin_scheduling 0
		.amdhsa_exception_fp_ieee_invalid_op 0
		.amdhsa_exception_fp_denorm_src 0
		.amdhsa_exception_fp_ieee_div_zero 0
		.amdhsa_exception_fp_ieee_overflow 0
		.amdhsa_exception_fp_ieee_underflow 0
		.amdhsa_exception_fp_ieee_inexact 0
		.amdhsa_exception_int_div_zero 0
	.end_amdhsa_kernel
	.section	.text._ZN7rocprim6detail19block_reduce_kernelILb1ELb0ELj8ENS0_21wrapped_reduce_configINS_14default_configEdEEdN6thrust11hip_rocprim26transform_input_iterator_tIdNS5_6detail15normal_iteratorINS5_10device_ptrIdEEEEZ4mainEUldE_EEPddNS5_4plusIdEEEEvT4_mT5_T6_T7_,"axG",@progbits,_ZN7rocprim6detail19block_reduce_kernelILb1ELb0ELj8ENS0_21wrapped_reduce_configINS_14default_configEdEEdN6thrust11hip_rocprim26transform_input_iterator_tIdNS5_6detail15normal_iteratorINS5_10device_ptrIdEEEEZ4mainEUldE_EEPddNS5_4plusIdEEEEvT4_mT5_T6_T7_,comdat
.Lfunc_end19:
	.size	_ZN7rocprim6detail19block_reduce_kernelILb1ELb0ELj8ENS0_21wrapped_reduce_configINS_14default_configEdEEdN6thrust11hip_rocprim26transform_input_iterator_tIdNS5_6detail15normal_iteratorINS5_10device_ptrIdEEEEZ4mainEUldE_EEPddNS5_4plusIdEEEEvT4_mT5_T6_T7_, .Lfunc_end19-_ZN7rocprim6detail19block_reduce_kernelILb1ELb0ELj8ENS0_21wrapped_reduce_configINS_14default_configEdEEdN6thrust11hip_rocprim26transform_input_iterator_tIdNS5_6detail15normal_iteratorINS5_10device_ptrIdEEEEZ4mainEUldE_EEPddNS5_4plusIdEEEEvT4_mT5_T6_T7_
                                        ; -- End function
	.section	.AMDGPU.csdata,"",@progbits
; Kernel info:
; codeLenInByte = 1656
; NumSgprs: 18
; NumVgprs: 9
; ScratchSize: 0
; MemoryBound: 0
; FloatMode: 240
; IeeeMode: 1
; LDSByteSize: 128 bytes/workgroup (compile time only)
; SGPRBlocks: 2
; VGPRBlocks: 1
; NumSGPRsForWavesPerEU: 18
; NumVGPRsForWavesPerEU: 9
; Occupancy: 16
; WaveLimiterHint : 1
; COMPUTE_PGM_RSRC2:SCRATCH_EN: 0
; COMPUTE_PGM_RSRC2:USER_SGPR: 2
; COMPUTE_PGM_RSRC2:TRAP_HANDLER: 0
; COMPUTE_PGM_RSRC2:TGID_X_EN: 1
; COMPUTE_PGM_RSRC2:TGID_Y_EN: 0
; COMPUTE_PGM_RSRC2:TGID_Z_EN: 0
; COMPUTE_PGM_RSRC2:TIDIG_COMP_CNT: 0
	.section	.text._ZN7rocprim6detail19block_reduce_kernelILb1ELb0ELj4ENS0_21wrapped_reduce_configINS_14default_configEdEEdN6thrust11hip_rocprim26transform_input_iterator_tIdNS5_6detail15normal_iteratorINS5_10device_ptrIdEEEEZ4mainEUldE_EEPddNS5_4plusIdEEEEvT4_mT5_T6_T7_,"axG",@progbits,_ZN7rocprim6detail19block_reduce_kernelILb1ELb0ELj4ENS0_21wrapped_reduce_configINS_14default_configEdEEdN6thrust11hip_rocprim26transform_input_iterator_tIdNS5_6detail15normal_iteratorINS5_10device_ptrIdEEEEZ4mainEUldE_EEPddNS5_4plusIdEEEEvT4_mT5_T6_T7_,comdat
	.globl	_ZN7rocprim6detail19block_reduce_kernelILb1ELb0ELj4ENS0_21wrapped_reduce_configINS_14default_configEdEEdN6thrust11hip_rocprim26transform_input_iterator_tIdNS5_6detail15normal_iteratorINS5_10device_ptrIdEEEEZ4mainEUldE_EEPddNS5_4plusIdEEEEvT4_mT5_T6_T7_ ; -- Begin function _ZN7rocprim6detail19block_reduce_kernelILb1ELb0ELj4ENS0_21wrapped_reduce_configINS_14default_configEdEEdN6thrust11hip_rocprim26transform_input_iterator_tIdNS5_6detail15normal_iteratorINS5_10device_ptrIdEEEEZ4mainEUldE_EEPddNS5_4plusIdEEEEvT4_mT5_T6_T7_
	.p2align	8
	.type	_ZN7rocprim6detail19block_reduce_kernelILb1ELb0ELj4ENS0_21wrapped_reduce_configINS_14default_configEdEEdN6thrust11hip_rocprim26transform_input_iterator_tIdNS5_6detail15normal_iteratorINS5_10device_ptrIdEEEEZ4mainEUldE_EEPddNS5_4plusIdEEEEvT4_mT5_T6_T7_,@function
_ZN7rocprim6detail19block_reduce_kernelILb1ELb0ELj4ENS0_21wrapped_reduce_configINS_14default_configEdEEdN6thrust11hip_rocprim26transform_input_iterator_tIdNS5_6detail15normal_iteratorINS5_10device_ptrIdEEEEZ4mainEUldE_EEPddNS5_4plusIdEEEEvT4_mT5_T6_T7_: ; @_ZN7rocprim6detail19block_reduce_kernelILb1ELb0ELj4ENS0_21wrapped_reduce_configINS_14default_configEdEEdN6thrust11hip_rocprim26transform_input_iterator_tIdNS5_6detail15normal_iteratorINS5_10device_ptrIdEEEEZ4mainEUldE_EEPddNS5_4plusIdEEEEvT4_mT5_T6_T7_
; %bb.0:
	s_clause 0x2
	s_load_b128 s[4:7], s[0:1], 0x10
	s_load_b64 s[10:11], s[0:1], 0x0
	s_load_b64 s[2:3], s[0:1], 0x20
	s_mov_b32 s1, 0
	s_lshl_b32 s0, ttmp9, 10
	v_lshlrev_b32_e32 v1, 3, v0
	s_lshl_b64 s[12:13], s[0:1], 3
	s_mov_b32 s9, s1
	v_mbcnt_lo_u32_b32 v11, -1, 0
	s_mov_b32 s8, ttmp9
	s_wait_kmcnt 0x0
	s_lshr_b64 s[14:15], s[4:5], 10
	s_add_nc_u64 s[10:11], s[10:11], s[12:13]
	s_cmp_lg_u64 s[14:15], s[8:9]
	v_add_co_u32 v9, s1, s10, v1
	s_delay_alu instid0(VALU_DEP_1)
	v_add_co_ci_u32_e64 v10, null, s11, 0, s1
	s_cbranch_scc0 .LBB20_6
; %bb.1:
	s_clause 0x3
	global_load_b64 v[1:2], v[9:10], off
	global_load_b64 v[3:4], v[9:10], off offset:2048
	global_load_b64 v[5:6], v[9:10], off offset:4096
	;; [unrolled: 1-line block ×3, first 2 shown]
	s_mov_b32 s1, exec_lo
	s_wait_loadcnt 0x2
	v_add_f64_e64 v[1:2], |v[1:2]|, |v[3:4]|
	s_wait_loadcnt 0x1
	s_delay_alu instid0(VALU_DEP_1) | instskip(SKIP_1) | instid1(VALU_DEP_1)
	v_add_f64_e64 v[1:2], v[1:2], |v[5:6]|
	s_wait_loadcnt 0x0
	v_add_f64_e64 v[1:2], v[1:2], |v[7:8]|
	s_delay_alu instid0(VALU_DEP_1) | instskip(NEXT) | instid1(VALU_DEP_2)
	v_mov_b32_dpp v3, v1 quad_perm:[1,0,3,2] row_mask:0xf bank_mask:0xf
	v_mov_b32_dpp v4, v2 quad_perm:[1,0,3,2] row_mask:0xf bank_mask:0xf
	s_delay_alu instid0(VALU_DEP_1) | instskip(NEXT) | instid1(VALU_DEP_1)
	v_add_f64_e32 v[1:2], v[1:2], v[3:4]
	v_mov_b32_dpp v3, v1 quad_perm:[2,3,0,1] row_mask:0xf bank_mask:0xf
	s_delay_alu instid0(VALU_DEP_2) | instskip(NEXT) | instid1(VALU_DEP_1)
	v_mov_b32_dpp v4, v2 quad_perm:[2,3,0,1] row_mask:0xf bank_mask:0xf
	v_add_f64_e32 v[1:2], v[1:2], v[3:4]
	s_delay_alu instid0(VALU_DEP_1) | instskip(NEXT) | instid1(VALU_DEP_2)
	v_mov_b32_dpp v3, v1 row_ror:4 row_mask:0xf bank_mask:0xf
	v_mov_b32_dpp v4, v2 row_ror:4 row_mask:0xf bank_mask:0xf
	s_delay_alu instid0(VALU_DEP_1) | instskip(NEXT) | instid1(VALU_DEP_1)
	v_add_f64_e32 v[1:2], v[1:2], v[3:4]
	v_mov_b32_dpp v3, v1 row_ror:8 row_mask:0xf bank_mask:0xf
	s_delay_alu instid0(VALU_DEP_2) | instskip(NEXT) | instid1(VALU_DEP_1)
	v_mov_b32_dpp v4, v2 row_ror:8 row_mask:0xf bank_mask:0xf
	v_add_f64_e32 v[1:2], v[1:2], v[3:4]
	ds_swizzle_b32 v3, v1 offset:swizzle(BROADCAST,32,15)
	ds_swizzle_b32 v4, v2 offset:swizzle(BROADCAST,32,15)
	s_wait_dscnt 0x0
	v_add_f64_e32 v[1:2], v[1:2], v[3:4]
	v_mov_b32_e32 v3, 0
	ds_bpermute_b32 v1, v3, v1 offset:124
	ds_bpermute_b32 v2, v3, v2 offset:124
	v_cmpx_eq_u32_e32 0, v11
	s_cbranch_execz .LBB20_3
; %bb.2:
	v_lshrrev_b32_e32 v3, 2, v0
	s_delay_alu instid0(VALU_DEP_1)
	v_and_b32_e32 v3, 56, v3
	s_wait_dscnt 0x0
	ds_store_b64 v3, v[1:2]
.LBB20_3:
	s_wait_alu 0xfffe
	s_or_b32 exec_lo, exec_lo, s1
	s_delay_alu instid0(SALU_CYCLE_1)
	s_mov_b32 s1, exec_lo
	global_wb scope:SCOPE_SE
	s_wait_dscnt 0x0
	s_barrier_signal -1
	s_barrier_wait -1
	global_inv scope:SCOPE_SE
	v_cmpx_gt_u32_e32 32, v0
	s_cbranch_execz .LBB20_5
; %bb.4:
	v_and_b32_e32 v5, 7, v11
	s_delay_alu instid0(VALU_DEP_1) | instskip(SKIP_4) | instid1(VALU_DEP_2)
	v_lshlrev_b32_e32 v1, 3, v5
	v_cmp_ne_u32_e32 vcc_lo, 7, v5
	ds_load_b64 v[1:2], v1
	v_add_co_ci_u32_e32 v3, vcc_lo, 0, v11, vcc_lo
	v_cmp_gt_u32_e32 vcc_lo, 6, v5
	v_lshlrev_b32_e32 v4, 2, v3
	s_wait_dscnt 0x0
	ds_bpermute_b32 v3, v4, v1
	ds_bpermute_b32 v4, v4, v2
	s_wait_dscnt 0x0
	v_add_f64_e32 v[1:2], v[1:2], v[3:4]
	s_wait_alu 0xfffd
	v_cndmask_b32_e64 v3, 0, 1, vcc_lo
	v_cmp_gt_u32_e32 vcc_lo, 4, v5
	s_delay_alu instid0(VALU_DEP_2) | instskip(NEXT) | instid1(VALU_DEP_1)
	v_lshlrev_b32_e32 v3, 1, v3
	v_add_lshl_u32 v4, v3, v11, 2
	ds_bpermute_b32 v3, v4, v1
	ds_bpermute_b32 v4, v4, v2
	s_wait_dscnt 0x0
	v_add_f64_e32 v[1:2], v[1:2], v[3:4]
	s_wait_alu 0xfffd
	v_cndmask_b32_e64 v3, 0, 1, vcc_lo
	s_delay_alu instid0(VALU_DEP_1) | instskip(NEXT) | instid1(VALU_DEP_1)
	v_lshlrev_b32_e32 v3, 2, v3
	v_add_lshl_u32 v4, v3, v11, 2
	ds_bpermute_b32 v3, v4, v1
	ds_bpermute_b32 v4, v4, v2
	s_wait_dscnt 0x0
	v_add_f64_e32 v[1:2], v[1:2], v[3:4]
.LBB20_5:
	s_wait_alu 0xfffe
	s_or_b32 exec_lo, exec_lo, s1
	s_branch .LBB20_36
.LBB20_6:
                                        ; implicit-def: $vgpr1_vgpr2
	s_cbranch_execz .LBB20_36
; %bb.7:
	s_sub_co_i32 s10, s4, s0
	s_mov_b32 s0, exec_lo
                                        ; implicit-def: $vgpr1_vgpr2_vgpr3_vgpr4_vgpr5_vgpr6_vgpr7_vgpr8
	s_wait_alu 0xfffe
	v_cmpx_gt_u32_e64 s10, v0
	s_cbranch_execz .LBB20_9
; %bb.8:
	global_load_b64 v[1:2], v[9:10], off
	s_wait_loadcnt 0x0
	v_and_b32_e32 v2, 0x7fffffff, v2
.LBB20_9:
	s_or_b32 exec_lo, exec_lo, s0
	v_or_b32_e32 v12, 0x100, v0
	s_delay_alu instid0(VALU_DEP_1)
	v_cmp_gt_u32_e32 vcc_lo, s10, v12
	s_and_saveexec_b32 s0, vcc_lo
	s_cbranch_execz .LBB20_11
; %bb.10:
	global_load_b64 v[3:4], v[9:10], off offset:2048
	s_wait_loadcnt 0x0
	v_and_b32_e32 v4, 0x7fffffff, v4
.LBB20_11:
	s_wait_alu 0xfffe
	s_or_b32 exec_lo, exec_lo, s0
	v_or_b32_e32 v12, 0x200, v0
	s_delay_alu instid0(VALU_DEP_1) | instskip(NEXT) | instid1(VALU_DEP_1)
	v_cmp_gt_u32_e64 s0, s10, v12
	s_and_saveexec_b32 s1, s0
	s_cbranch_execz .LBB20_13
; %bb.12:
	global_load_b64 v[5:6], v[9:10], off offset:4096
	s_wait_loadcnt 0x0
	v_and_b32_e32 v6, 0x7fffffff, v6
.LBB20_13:
	s_wait_alu 0xfffe
	s_or_b32 exec_lo, exec_lo, s1
	v_or_b32_e32 v12, 0x300, v0
	s_delay_alu instid0(VALU_DEP_1) | instskip(NEXT) | instid1(VALU_DEP_1)
	v_cmp_gt_u32_e64 s1, s10, v12
	s_and_saveexec_b32 s11, s1
	s_cbranch_execz .LBB20_15
; %bb.14:
	global_load_b64 v[7:8], v[9:10], off offset:6144
	s_wait_loadcnt 0x0
	v_and_b32_e32 v8, 0x7fffffff, v8
.LBB20_15:
	s_wait_alu 0xfffe
	s_or_b32 exec_lo, exec_lo, s11
	v_add_f64_e32 v[3:4], v[1:2], v[3:4]
	s_delay_alu instid0(VALU_DEP_1) | instskip(SKIP_1) | instid1(VALU_DEP_2)
	v_dual_cndmask_b32 v2, v2, v4 :: v_dual_cndmask_b32 v1, v1, v3
	v_cmp_ne_u32_e32 vcc_lo, 31, v11
	v_add_f64_e32 v[3:4], v[5:6], v[1:2]
	s_wait_alu 0xfffd
	v_add_co_ci_u32_e32 v5, vcc_lo, 0, v11, vcc_lo
	v_add_nc_u32_e32 v6, 1, v11
	s_delay_alu instid0(VALU_DEP_2) | instskip(NEXT) | instid1(VALU_DEP_4)
	v_lshlrev_b32_e32 v5, 2, v5
	v_cndmask_b32_e64 v2, v2, v4, s0
	v_cndmask_b32_e64 v1, v1, v3, s0
	s_min_u32 s0, s10, 0x100
	s_delay_alu instid0(VALU_DEP_1) | instskip(NEXT) | instid1(VALU_DEP_1)
	v_add_f64_e32 v[3:4], v[7:8], v[1:2]
	v_cndmask_b32_e64 v1, v1, v3, s1
	s_delay_alu instid0(VALU_DEP_2)
	v_cndmask_b32_e64 v2, v2, v4, s1
	s_mov_b32 s1, exec_lo
	ds_bpermute_b32 v3, v5, v1
	ds_bpermute_b32 v4, v5, v2
	v_and_b32_e32 v5, 0xe0, v0
	s_wait_alu 0xfffe
	s_delay_alu instid0(VALU_DEP_1) | instskip(NEXT) | instid1(VALU_DEP_1)
	v_sub_nc_u32_e64 v5, s0, v5 clamp
	v_cmpx_lt_u32_e64 v6, v5
	s_cbranch_execz .LBB20_17
; %bb.16:
	s_wait_dscnt 0x0
	v_add_f64_e32 v[1:2], v[1:2], v[3:4]
.LBB20_17:
	s_or_b32 exec_lo, exec_lo, s1
	v_cmp_gt_u32_e32 vcc_lo, 30, v11
	v_add_nc_u32_e32 v6, 2, v11
	s_mov_b32 s1, exec_lo
	s_wait_dscnt 0x1
	s_wait_alu 0xfffd
	v_cndmask_b32_e64 v3, 0, 1, vcc_lo
	s_delay_alu instid0(VALU_DEP_1) | instskip(SKIP_1) | instid1(VALU_DEP_1)
	v_lshlrev_b32_e32 v3, 1, v3
	s_wait_dscnt 0x0
	v_add_lshl_u32 v4, v3, v11, 2
	ds_bpermute_b32 v3, v4, v1
	ds_bpermute_b32 v4, v4, v2
	v_cmpx_lt_u32_e64 v6, v5
	s_cbranch_execz .LBB20_19
; %bb.18:
	s_wait_dscnt 0x0
	v_add_f64_e32 v[1:2], v[1:2], v[3:4]
.LBB20_19:
	s_wait_alu 0xfffe
	s_or_b32 exec_lo, exec_lo, s1
	v_cmp_gt_u32_e32 vcc_lo, 28, v11
	v_add_nc_u32_e32 v6, 4, v11
	s_mov_b32 s1, exec_lo
	s_wait_dscnt 0x1
	s_wait_alu 0xfffd
	v_cndmask_b32_e64 v3, 0, 1, vcc_lo
	s_delay_alu instid0(VALU_DEP_1) | instskip(SKIP_1) | instid1(VALU_DEP_1)
	v_lshlrev_b32_e32 v3, 2, v3
	s_wait_dscnt 0x0
	v_add_lshl_u32 v4, v3, v11, 2
	ds_bpermute_b32 v3, v4, v1
	ds_bpermute_b32 v4, v4, v2
	v_cmpx_lt_u32_e64 v6, v5
	s_cbranch_execz .LBB20_21
; %bb.20:
	s_wait_dscnt 0x0
	v_add_f64_e32 v[1:2], v[1:2], v[3:4]
.LBB20_21:
	s_wait_alu 0xfffe
	s_or_b32 exec_lo, exec_lo, s1
	v_cmp_gt_u32_e32 vcc_lo, 24, v11
	v_add_nc_u32_e32 v6, 8, v11
	s_mov_b32 s1, exec_lo
	s_wait_dscnt 0x1
	s_wait_alu 0xfffd
	v_cndmask_b32_e64 v3, 0, 1, vcc_lo
	s_delay_alu instid0(VALU_DEP_1) | instskip(SKIP_1) | instid1(VALU_DEP_1)
	v_lshlrev_b32_e32 v3, 3, v3
	s_wait_dscnt 0x0
	v_add_lshl_u32 v4, v3, v11, 2
	ds_bpermute_b32 v3, v4, v1
	ds_bpermute_b32 v4, v4, v2
	v_cmpx_lt_u32_e64 v6, v5
	s_cbranch_execz .LBB20_23
; %bb.22:
	s_wait_dscnt 0x0
	v_add_f64_e32 v[1:2], v[1:2], v[3:4]
.LBB20_23:
	s_wait_alu 0xfffe
	s_or_b32 exec_lo, exec_lo, s1
	v_cmp_gt_u32_e32 vcc_lo, 16, v11
	v_add_nc_u32_e32 v6, 16, v11
	s_mov_b32 s1, exec_lo
	s_wait_dscnt 0x1
	s_wait_alu 0xfffd
	v_cndmask_b32_e64 v3, 0, 1, vcc_lo
	s_delay_alu instid0(VALU_DEP_1) | instskip(SKIP_1) | instid1(VALU_DEP_1)
	v_lshlrev_b32_e32 v3, 4, v3
	s_wait_dscnt 0x0
	v_add_lshl_u32 v4, v3, v11, 2
	ds_bpermute_b32 v3, v4, v1
	ds_bpermute_b32 v4, v4, v2
	v_cmpx_lt_u32_e64 v6, v5
	s_cbranch_execz .LBB20_25
; %bb.24:
	s_wait_dscnt 0x0
	v_add_f64_e32 v[1:2], v[1:2], v[3:4]
.LBB20_25:
	s_wait_alu 0xfffe
	s_or_b32 exec_lo, exec_lo, s1
	s_delay_alu instid0(SALU_CYCLE_1)
	s_mov_b32 s1, exec_lo
	v_cmpx_eq_u32_e32 0, v11
	s_cbranch_execz .LBB20_27
; %bb.26:
	s_wait_dscnt 0x1
	v_lshrrev_b32_e32 v3, 2, v0
	s_delay_alu instid0(VALU_DEP_1)
	v_and_b32_e32 v3, 56, v3
	ds_store_b64 v3, v[1:2] offset:64
.LBB20_27:
	s_wait_alu 0xfffe
	s_or_b32 exec_lo, exec_lo, s1
	s_delay_alu instid0(SALU_CYCLE_1)
	s_mov_b32 s1, exec_lo
	global_wb scope:SCOPE_SE
	s_wait_dscnt 0x0
	s_barrier_signal -1
	s_barrier_wait -1
	global_inv scope:SCOPE_SE
	v_cmpx_gt_u32_e32 8, v0
	s_cbranch_execz .LBB20_35
; %bb.28:
	v_lshlrev_b32_e32 v1, 3, v11
	v_and_b32_e32 v5, 7, v11
	s_add_co_i32 s0, s0, 31
	s_mov_b32 s10, exec_lo
	s_wait_alu 0xfffe
	s_lshr_b32 s0, s0, 5
	ds_load_b64 v[1:2], v1 offset:64
	v_cmp_ne_u32_e32 vcc_lo, 7, v5
	v_add_nc_u32_e32 v6, 1, v5
	s_wait_alu 0xfffd
	v_add_co_ci_u32_e32 v3, vcc_lo, 0, v11, vcc_lo
	s_delay_alu instid0(VALU_DEP_1)
	v_lshlrev_b32_e32 v4, 2, v3
	s_wait_dscnt 0x0
	ds_bpermute_b32 v3, v4, v1
	ds_bpermute_b32 v4, v4, v2
	s_wait_alu 0xfffe
	v_cmpx_gt_u32_e64 s0, v6
	s_cbranch_execz .LBB20_30
; %bb.29:
	s_wait_dscnt 0x0
	v_add_f64_e32 v[1:2], v[1:2], v[3:4]
.LBB20_30:
	s_or_b32 exec_lo, exec_lo, s10
	v_cmp_gt_u32_e32 vcc_lo, 6, v5
	v_add_nc_u32_e32 v6, 2, v5
	s_mov_b32 s10, exec_lo
	s_wait_dscnt 0x1
	s_wait_alu 0xfffd
	v_cndmask_b32_e64 v3, 0, 1, vcc_lo
	s_delay_alu instid0(VALU_DEP_1) | instskip(SKIP_1) | instid1(VALU_DEP_1)
	v_lshlrev_b32_e32 v3, 1, v3
	s_wait_dscnt 0x0
	v_add_lshl_u32 v4, v3, v11, 2
	ds_bpermute_b32 v3, v4, v1
	ds_bpermute_b32 v4, v4, v2
	v_cmpx_gt_u32_e64 s0, v6
	s_cbranch_execz .LBB20_32
; %bb.31:
	s_wait_dscnt 0x0
	v_add_f64_e32 v[1:2], v[1:2], v[3:4]
.LBB20_32:
	s_wait_alu 0xfffe
	s_or_b32 exec_lo, exec_lo, s10
	v_cmp_gt_u32_e32 vcc_lo, 4, v5
	v_add_nc_u32_e32 v5, 4, v5
	s_wait_dscnt 0x1
	s_wait_alu 0xfffd
	v_cndmask_b32_e64 v3, 0, 1, vcc_lo
	s_delay_alu instid0(VALU_DEP_2) | instskip(NEXT) | instid1(VALU_DEP_2)
	v_cmp_gt_u32_e32 vcc_lo, s0, v5
	v_lshlrev_b32_e32 v3, 2, v3
	s_wait_dscnt 0x0
	s_delay_alu instid0(VALU_DEP_1)
	v_add_lshl_u32 v4, v3, v11, 2
	ds_bpermute_b32 v3, v4, v1
	ds_bpermute_b32 v4, v4, v2
	s_and_saveexec_b32 s0, vcc_lo
	s_cbranch_execz .LBB20_34
; %bb.33:
	s_wait_dscnt 0x0
	v_add_f64_e32 v[1:2], v[1:2], v[3:4]
.LBB20_34:
	s_wait_alu 0xfffe
	s_or_b32 exec_lo, exec_lo, s0
.LBB20_35:
	s_wait_alu 0xfffe
	s_or_b32 exec_lo, exec_lo, s1
.LBB20_36:
	s_delay_alu instid0(SALU_CYCLE_1)
	s_mov_b32 s0, exec_lo
	v_cmpx_eq_u32_e32 0, v0
	s_cbranch_execz .LBB20_38
; %bb.37:
	s_delay_alu instid0(VALU_DEP_2)
	v_add_f64_e32 v[0:1], s[2:3], v[1:2]
	s_lshl_b64 s[0:1], s[8:9], 3
	s_cmp_eq_u64 s[4:5], 0
	v_mov_b32_e32 v2, 0
	s_cselect_b32 s4, -1, 0
	s_wait_alu 0xfffe
	s_add_nc_u64 s[0:1], s[6:7], s[0:1]
	s_delay_alu instid0(VALU_DEP_2) | instskip(NEXT) | instid1(VALU_DEP_3)
	v_cndmask_b32_e64 v1, v1, s3, s4
	v_cndmask_b32_e64 v0, v0, s2, s4
	global_store_b64 v2, v[0:1], s[0:1]
.LBB20_38:
	s_nop 0
	s_sendmsg sendmsg(MSG_DEALLOC_VGPRS)
	s_endpgm
	.section	.rodata,"a",@progbits
	.p2align	6, 0x0
	.amdhsa_kernel _ZN7rocprim6detail19block_reduce_kernelILb1ELb0ELj4ENS0_21wrapped_reduce_configINS_14default_configEdEEdN6thrust11hip_rocprim26transform_input_iterator_tIdNS5_6detail15normal_iteratorINS5_10device_ptrIdEEEEZ4mainEUldE_EEPddNS5_4plusIdEEEEvT4_mT5_T6_T7_
		.amdhsa_group_segment_fixed_size 128
		.amdhsa_private_segment_fixed_size 0
		.amdhsa_kernarg_size 44
		.amdhsa_user_sgpr_count 2
		.amdhsa_user_sgpr_dispatch_ptr 0
		.amdhsa_user_sgpr_queue_ptr 0
		.amdhsa_user_sgpr_kernarg_segment_ptr 1
		.amdhsa_user_sgpr_dispatch_id 0
		.amdhsa_user_sgpr_private_segment_size 0
		.amdhsa_wavefront_size32 1
		.amdhsa_uses_dynamic_stack 0
		.amdhsa_enable_private_segment 0
		.amdhsa_system_sgpr_workgroup_id_x 1
		.amdhsa_system_sgpr_workgroup_id_y 0
		.amdhsa_system_sgpr_workgroup_id_z 0
		.amdhsa_system_sgpr_workgroup_info 0
		.amdhsa_system_vgpr_workitem_id 0
		.amdhsa_next_free_vgpr 13
		.amdhsa_next_free_sgpr 16
		.amdhsa_reserve_vcc 1
		.amdhsa_float_round_mode_32 0
		.amdhsa_float_round_mode_16_64 0
		.amdhsa_float_denorm_mode_32 3
		.amdhsa_float_denorm_mode_16_64 3
		.amdhsa_fp16_overflow 0
		.amdhsa_workgroup_processor_mode 1
		.amdhsa_memory_ordered 1
		.amdhsa_forward_progress 0
		.amdhsa_round_robin_scheduling 0
		.amdhsa_exception_fp_ieee_invalid_op 0
		.amdhsa_exception_fp_denorm_src 0
		.amdhsa_exception_fp_ieee_div_zero 0
		.amdhsa_exception_fp_ieee_overflow 0
		.amdhsa_exception_fp_ieee_underflow 0
		.amdhsa_exception_fp_ieee_inexact 0
		.amdhsa_exception_int_div_zero 0
	.end_amdhsa_kernel
	.section	.text._ZN7rocprim6detail19block_reduce_kernelILb1ELb0ELj4ENS0_21wrapped_reduce_configINS_14default_configEdEEdN6thrust11hip_rocprim26transform_input_iterator_tIdNS5_6detail15normal_iteratorINS5_10device_ptrIdEEEEZ4mainEUldE_EEPddNS5_4plusIdEEEEvT4_mT5_T6_T7_,"axG",@progbits,_ZN7rocprim6detail19block_reduce_kernelILb1ELb0ELj4ENS0_21wrapped_reduce_configINS_14default_configEdEEdN6thrust11hip_rocprim26transform_input_iterator_tIdNS5_6detail15normal_iteratorINS5_10device_ptrIdEEEEZ4mainEUldE_EEPddNS5_4plusIdEEEEvT4_mT5_T6_T7_,comdat
.Lfunc_end20:
	.size	_ZN7rocprim6detail19block_reduce_kernelILb1ELb0ELj4ENS0_21wrapped_reduce_configINS_14default_configEdEEdN6thrust11hip_rocprim26transform_input_iterator_tIdNS5_6detail15normal_iteratorINS5_10device_ptrIdEEEEZ4mainEUldE_EEPddNS5_4plusIdEEEEvT4_mT5_T6_T7_, .Lfunc_end20-_ZN7rocprim6detail19block_reduce_kernelILb1ELb0ELj4ENS0_21wrapped_reduce_configINS_14default_configEdEEdN6thrust11hip_rocprim26transform_input_iterator_tIdNS5_6detail15normal_iteratorINS5_10device_ptrIdEEEEZ4mainEUldE_EEPddNS5_4plusIdEEEEvT4_mT5_T6_T7_
                                        ; -- End function
	.section	.AMDGPU.csdata,"",@progbits
; Kernel info:
; codeLenInByte = 1872
; NumSgprs: 18
; NumVgprs: 13
; ScratchSize: 0
; MemoryBound: 0
; FloatMode: 240
; IeeeMode: 1
; LDSByteSize: 128 bytes/workgroup (compile time only)
; SGPRBlocks: 2
; VGPRBlocks: 1
; NumSGPRsForWavesPerEU: 18
; NumVGPRsForWavesPerEU: 13
; Occupancy: 16
; WaveLimiterHint : 1
; COMPUTE_PGM_RSRC2:SCRATCH_EN: 0
; COMPUTE_PGM_RSRC2:USER_SGPR: 2
; COMPUTE_PGM_RSRC2:TRAP_HANDLER: 0
; COMPUTE_PGM_RSRC2:TGID_X_EN: 1
; COMPUTE_PGM_RSRC2:TGID_Y_EN: 0
; COMPUTE_PGM_RSRC2:TGID_Z_EN: 0
; COMPUTE_PGM_RSRC2:TIDIG_COMP_CNT: 0
	.section	.text._ZN7rocprim6detail19block_reduce_kernelILb1ELb0ELj2ENS0_21wrapped_reduce_configINS_14default_configEdEEdN6thrust11hip_rocprim26transform_input_iterator_tIdNS5_6detail15normal_iteratorINS5_10device_ptrIdEEEEZ4mainEUldE_EEPddNS5_4plusIdEEEEvT4_mT5_T6_T7_,"axG",@progbits,_ZN7rocprim6detail19block_reduce_kernelILb1ELb0ELj2ENS0_21wrapped_reduce_configINS_14default_configEdEEdN6thrust11hip_rocprim26transform_input_iterator_tIdNS5_6detail15normal_iteratorINS5_10device_ptrIdEEEEZ4mainEUldE_EEPddNS5_4plusIdEEEEvT4_mT5_T6_T7_,comdat
	.globl	_ZN7rocprim6detail19block_reduce_kernelILb1ELb0ELj2ENS0_21wrapped_reduce_configINS_14default_configEdEEdN6thrust11hip_rocprim26transform_input_iterator_tIdNS5_6detail15normal_iteratorINS5_10device_ptrIdEEEEZ4mainEUldE_EEPddNS5_4plusIdEEEEvT4_mT5_T6_T7_ ; -- Begin function _ZN7rocprim6detail19block_reduce_kernelILb1ELb0ELj2ENS0_21wrapped_reduce_configINS_14default_configEdEEdN6thrust11hip_rocprim26transform_input_iterator_tIdNS5_6detail15normal_iteratorINS5_10device_ptrIdEEEEZ4mainEUldE_EEPddNS5_4plusIdEEEEvT4_mT5_T6_T7_
	.p2align	8
	.type	_ZN7rocprim6detail19block_reduce_kernelILb1ELb0ELj2ENS0_21wrapped_reduce_configINS_14default_configEdEEdN6thrust11hip_rocprim26transform_input_iterator_tIdNS5_6detail15normal_iteratorINS5_10device_ptrIdEEEEZ4mainEUldE_EEPddNS5_4plusIdEEEEvT4_mT5_T6_T7_,@function
_ZN7rocprim6detail19block_reduce_kernelILb1ELb0ELj2ENS0_21wrapped_reduce_configINS_14default_configEdEEdN6thrust11hip_rocprim26transform_input_iterator_tIdNS5_6detail15normal_iteratorINS5_10device_ptrIdEEEEZ4mainEUldE_EEPddNS5_4plusIdEEEEvT4_mT5_T6_T7_: ; @_ZN7rocprim6detail19block_reduce_kernelILb1ELb0ELj2ENS0_21wrapped_reduce_configINS_14default_configEdEEdN6thrust11hip_rocprim26transform_input_iterator_tIdNS5_6detail15normal_iteratorINS5_10device_ptrIdEEEEZ4mainEUldE_EEPddNS5_4plusIdEEEEvT4_mT5_T6_T7_
; %bb.0:
	s_clause 0x2
	s_load_b128 s[8:11], s[0:1], 0x10
	s_load_b64 s[2:3], s[0:1], 0x0
	s_load_b64 s[6:7], s[0:1], 0x20
	s_mov_b32 s1, 0
	s_lshl_b32 s0, ttmp9, 11
	v_lshlrev_b32_e32 v1, 3, v0
	s_lshl_b64 s[4:5], s[0:1], 3
	s_mov_b32 s13, s1
	v_mbcnt_lo_u32_b32 v19, -1, 0
	s_mov_b32 s12, ttmp9
	s_wait_kmcnt 0x0
	s_lshr_b64 s[14:15], s[8:9], 11
	s_add_nc_u64 s[2:3], s[2:3], s[4:5]
	s_cmp_lg_u64 s[14:15], s[12:13]
	v_add_co_u32 v17, s1, s2, v1
	s_delay_alu instid0(VALU_DEP_1)
	v_add_co_ci_u32_e64 v18, null, s3, 0, s1
	s_cbranch_scc0 .LBB21_6
; %bb.1:
	s_clause 0x7
	global_load_b64 v[1:2], v[17:18], off
	global_load_b64 v[3:4], v[17:18], off offset:2048
	global_load_b64 v[5:6], v[17:18], off offset:4096
	;; [unrolled: 1-line block ×7, first 2 shown]
	s_mov_b32 s1, exec_lo
	s_wait_loadcnt 0x6
	v_add_f64_e64 v[1:2], |v[1:2]|, |v[3:4]|
	s_wait_loadcnt 0x5
	s_delay_alu instid0(VALU_DEP_1) | instskip(SKIP_1) | instid1(VALU_DEP_1)
	v_add_f64_e64 v[1:2], v[1:2], |v[5:6]|
	s_wait_loadcnt 0x4
	v_add_f64_e64 v[1:2], v[1:2], |v[7:8]|
	s_wait_loadcnt 0x3
	s_delay_alu instid0(VALU_DEP_1) | instskip(SKIP_1) | instid1(VALU_DEP_1)
	v_add_f64_e64 v[1:2], v[1:2], |v[9:10]|
	s_wait_loadcnt 0x2
	v_add_f64_e64 v[1:2], v[1:2], |v[11:12]|
	;; [unrolled: 5-line block ×3, first 2 shown]
	s_delay_alu instid0(VALU_DEP_1) | instskip(NEXT) | instid1(VALU_DEP_2)
	v_mov_b32_dpp v3, v1 quad_perm:[1,0,3,2] row_mask:0xf bank_mask:0xf
	v_mov_b32_dpp v4, v2 quad_perm:[1,0,3,2] row_mask:0xf bank_mask:0xf
	s_delay_alu instid0(VALU_DEP_1) | instskip(NEXT) | instid1(VALU_DEP_1)
	v_add_f64_e32 v[1:2], v[1:2], v[3:4]
	v_mov_b32_dpp v3, v1 quad_perm:[2,3,0,1] row_mask:0xf bank_mask:0xf
	s_delay_alu instid0(VALU_DEP_2) | instskip(NEXT) | instid1(VALU_DEP_1)
	v_mov_b32_dpp v4, v2 quad_perm:[2,3,0,1] row_mask:0xf bank_mask:0xf
	v_add_f64_e32 v[1:2], v[1:2], v[3:4]
	s_delay_alu instid0(VALU_DEP_1) | instskip(NEXT) | instid1(VALU_DEP_2)
	v_mov_b32_dpp v3, v1 row_ror:4 row_mask:0xf bank_mask:0xf
	v_mov_b32_dpp v4, v2 row_ror:4 row_mask:0xf bank_mask:0xf
	s_delay_alu instid0(VALU_DEP_1) | instskip(NEXT) | instid1(VALU_DEP_1)
	v_add_f64_e32 v[1:2], v[1:2], v[3:4]
	v_mov_b32_dpp v3, v1 row_ror:8 row_mask:0xf bank_mask:0xf
	s_delay_alu instid0(VALU_DEP_2) | instskip(NEXT) | instid1(VALU_DEP_1)
	v_mov_b32_dpp v4, v2 row_ror:8 row_mask:0xf bank_mask:0xf
	v_add_f64_e32 v[1:2], v[1:2], v[3:4]
	ds_swizzle_b32 v3, v1 offset:swizzle(BROADCAST,32,15)
	ds_swizzle_b32 v4, v2 offset:swizzle(BROADCAST,32,15)
	s_wait_dscnt 0x0
	v_add_f64_e32 v[1:2], v[1:2], v[3:4]
	v_mov_b32_e32 v3, 0
	ds_bpermute_b32 v1, v3, v1 offset:124
	ds_bpermute_b32 v2, v3, v2 offset:124
	v_cmpx_eq_u32_e32 0, v19
	s_cbranch_execz .LBB21_3
; %bb.2:
	v_lshrrev_b32_e32 v3, 2, v0
	s_delay_alu instid0(VALU_DEP_1)
	v_and_b32_e32 v3, 56, v3
	s_wait_dscnt 0x0
	ds_store_b64 v3, v[1:2]
.LBB21_3:
	s_wait_alu 0xfffe
	s_or_b32 exec_lo, exec_lo, s1
	s_delay_alu instid0(SALU_CYCLE_1)
	s_mov_b32 s1, exec_lo
	global_wb scope:SCOPE_SE
	s_wait_dscnt 0x0
	s_barrier_signal -1
	s_barrier_wait -1
	global_inv scope:SCOPE_SE
	v_cmpx_gt_u32_e32 32, v0
	s_cbranch_execz .LBB21_5
; %bb.4:
	v_and_b32_e32 v5, 7, v19
	s_delay_alu instid0(VALU_DEP_1) | instskip(SKIP_4) | instid1(VALU_DEP_2)
	v_lshlrev_b32_e32 v1, 3, v5
	v_cmp_ne_u32_e32 vcc_lo, 7, v5
	ds_load_b64 v[1:2], v1
	v_add_co_ci_u32_e32 v3, vcc_lo, 0, v19, vcc_lo
	v_cmp_gt_u32_e32 vcc_lo, 6, v5
	v_lshlrev_b32_e32 v4, 2, v3
	s_wait_dscnt 0x0
	ds_bpermute_b32 v3, v4, v1
	ds_bpermute_b32 v4, v4, v2
	s_wait_dscnt 0x0
	v_add_f64_e32 v[1:2], v[1:2], v[3:4]
	s_wait_alu 0xfffd
	v_cndmask_b32_e64 v3, 0, 1, vcc_lo
	v_cmp_gt_u32_e32 vcc_lo, 4, v5
	s_delay_alu instid0(VALU_DEP_2) | instskip(NEXT) | instid1(VALU_DEP_1)
	v_lshlrev_b32_e32 v3, 1, v3
	v_add_lshl_u32 v4, v3, v19, 2
	ds_bpermute_b32 v3, v4, v1
	ds_bpermute_b32 v4, v4, v2
	s_wait_dscnt 0x0
	v_add_f64_e32 v[1:2], v[1:2], v[3:4]
	s_wait_alu 0xfffd
	v_cndmask_b32_e64 v3, 0, 1, vcc_lo
	s_delay_alu instid0(VALU_DEP_1) | instskip(NEXT) | instid1(VALU_DEP_1)
	v_lshlrev_b32_e32 v3, 2, v3
	v_add_lshl_u32 v4, v3, v19, 2
	ds_bpermute_b32 v3, v4, v1
	ds_bpermute_b32 v4, v4, v2
	s_wait_dscnt 0x0
	v_add_f64_e32 v[1:2], v[1:2], v[3:4]
.LBB21_5:
	s_wait_alu 0xfffe
	s_or_b32 exec_lo, exec_lo, s1
	s_branch .LBB21_44
.LBB21_6:
                                        ; implicit-def: $vgpr1_vgpr2
	s_cbranch_execz .LBB21_44
; %bb.7:
	s_sub_co_i32 s14, s8, s0
	s_mov_b32 s0, exec_lo
                                        ; implicit-def: $vgpr1_vgpr2_vgpr3_vgpr4_vgpr5_vgpr6_vgpr7_vgpr8_vgpr9_vgpr10_vgpr11_vgpr12_vgpr13_vgpr14_vgpr15_vgpr16
	v_cmpx_gt_u32_e64 s14, v0
	s_cbranch_execz .LBB21_9
; %bb.8:
	global_load_b64 v[1:2], v[17:18], off
	s_wait_loadcnt 0x0
	v_and_b32_e32 v2, 0x7fffffff, v2
.LBB21_9:
	s_wait_alu 0xfffe
	s_or_b32 exec_lo, exec_lo, s0
	v_or_b32_e32 v20, 0x100, v0
	s_delay_alu instid0(VALU_DEP_1)
	v_cmp_gt_u32_e32 vcc_lo, s14, v20
	s_and_saveexec_b32 s0, vcc_lo
	s_cbranch_execz .LBB21_11
; %bb.10:
	global_load_b64 v[3:4], v[17:18], off offset:2048
	s_wait_loadcnt 0x0
	v_and_b32_e32 v4, 0x7fffffff, v4
.LBB21_11:
	s_wait_alu 0xfffe
	s_or_b32 exec_lo, exec_lo, s0
	v_or_b32_e32 v20, 0x200, v0
	s_delay_alu instid0(VALU_DEP_1) | instskip(NEXT) | instid1(VALU_DEP_1)
	v_cmp_gt_u32_e64 s0, s14, v20
	s_and_saveexec_b32 s1, s0
	s_cbranch_execz .LBB21_13
; %bb.12:
	global_load_b64 v[5:6], v[17:18], off offset:4096
	s_wait_loadcnt 0x0
	v_and_b32_e32 v6, 0x7fffffff, v6
.LBB21_13:
	s_wait_alu 0xfffe
	s_or_b32 exec_lo, exec_lo, s1
	v_or_b32_e32 v20, 0x300, v0
	s_delay_alu instid0(VALU_DEP_1) | instskip(NEXT) | instid1(VALU_DEP_1)
	v_cmp_gt_u32_e64 s1, s14, v20
	s_and_saveexec_b32 s2, s1
	;; [unrolled: 12-line block ×4, first 2 shown]
	s_cbranch_execz .LBB21_19
; %bb.18:
	global_load_b64 v[11:12], v[17:18], off offset:10240
	s_wait_loadcnt 0x0
	v_and_b32_e32 v12, 0x7fffffff, v12
.LBB21_19:
	s_or_b32 exec_lo, exec_lo, s4
	v_or_b32_e32 v20, 0x600, v0
	s_delay_alu instid0(VALU_DEP_1) | instskip(NEXT) | instid1(VALU_DEP_1)
	v_cmp_gt_u32_e64 s4, s14, v20
	s_and_saveexec_b32 s5, s4
	s_cbranch_execz .LBB21_21
; %bb.20:
	global_load_b64 v[13:14], v[17:18], off offset:12288
	s_wait_loadcnt 0x0
	v_and_b32_e32 v14, 0x7fffffff, v14
.LBB21_21:
	s_or_b32 exec_lo, exec_lo, s5
	v_or_b32_e32 v20, 0x700, v0
	s_delay_alu instid0(VALU_DEP_1) | instskip(NEXT) | instid1(VALU_DEP_1)
	v_cmp_gt_u32_e64 s5, s14, v20
	s_and_saveexec_b32 s15, s5
	s_cbranch_execz .LBB21_23
; %bb.22:
	global_load_b64 v[15:16], v[17:18], off offset:14336
	s_wait_loadcnt 0x0
	v_and_b32_e32 v16, 0x7fffffff, v16
.LBB21_23:
	s_wait_alu 0xfffe
	s_or_b32 exec_lo, exec_lo, s15
	v_add_f64_e32 v[3:4], v[1:2], v[3:4]
	s_delay_alu instid0(VALU_DEP_1) | instskip(SKIP_1) | instid1(VALU_DEP_2)
	v_dual_cndmask_b32 v2, v2, v4 :: v_dual_cndmask_b32 v1, v1, v3
	v_cmp_ne_u32_e32 vcc_lo, 31, v19
	v_add_f64_e32 v[3:4], v[5:6], v[1:2]
	s_wait_alu 0xfffd
	v_add_co_ci_u32_e32 v5, vcc_lo, 0, v19, vcc_lo
	v_add_nc_u32_e32 v6, 1, v19
	s_delay_alu instid0(VALU_DEP_2) | instskip(NEXT) | instid1(VALU_DEP_4)
	v_lshlrev_b32_e32 v5, 2, v5
	v_cndmask_b32_e64 v2, v2, v4, s0
	v_cndmask_b32_e64 v1, v1, v3, s0
	s_min_u32 s0, s14, 0x100
	s_delay_alu instid0(VALU_DEP_1) | instskip(NEXT) | instid1(VALU_DEP_1)
	v_add_f64_e32 v[3:4], v[7:8], v[1:2]
	v_cndmask_b32_e64 v2, v2, v4, s1
	s_delay_alu instid0(VALU_DEP_2) | instskip(SKIP_1) | instid1(VALU_DEP_1)
	v_cndmask_b32_e64 v1, v1, v3, s1
	s_mov_b32 s1, exec_lo
	v_add_f64_e32 v[3:4], v[9:10], v[1:2]
	s_delay_alu instid0(VALU_DEP_1) | instskip(NEXT) | instid1(VALU_DEP_2)
	v_cndmask_b32_e64 v2, v2, v4, s2
	v_cndmask_b32_e64 v1, v1, v3, s2
	s_delay_alu instid0(VALU_DEP_1) | instskip(NEXT) | instid1(VALU_DEP_1)
	v_add_f64_e32 v[3:4], v[11:12], v[1:2]
	v_cndmask_b32_e64 v2, v2, v4, s3
	s_delay_alu instid0(VALU_DEP_2) | instskip(NEXT) | instid1(VALU_DEP_1)
	v_cndmask_b32_e64 v1, v1, v3, s3
	v_add_f64_e32 v[3:4], v[13:14], v[1:2]
	s_delay_alu instid0(VALU_DEP_1) | instskip(NEXT) | instid1(VALU_DEP_2)
	v_cndmask_b32_e64 v2, v2, v4, s4
	v_cndmask_b32_e64 v1, v1, v3, s4
	s_delay_alu instid0(VALU_DEP_1) | instskip(NEXT) | instid1(VALU_DEP_1)
	v_add_f64_e32 v[3:4], v[15:16], v[1:2]
	v_cndmask_b32_e64 v1, v1, v3, s5
	s_delay_alu instid0(VALU_DEP_2) | instskip(SKIP_4) | instid1(VALU_DEP_1)
	v_cndmask_b32_e64 v2, v2, v4, s5
	ds_bpermute_b32 v3, v5, v1
	ds_bpermute_b32 v4, v5, v2
	v_and_b32_e32 v5, 0xe0, v0
	s_wait_alu 0xfffe
	v_sub_nc_u32_e64 v5, s0, v5 clamp
	s_delay_alu instid0(VALU_DEP_1)
	v_cmpx_lt_u32_e64 v6, v5
	s_cbranch_execz .LBB21_25
; %bb.24:
	s_wait_dscnt 0x0
	v_add_f64_e32 v[1:2], v[1:2], v[3:4]
.LBB21_25:
	s_or_b32 exec_lo, exec_lo, s1
	v_cmp_gt_u32_e32 vcc_lo, 30, v19
	v_add_nc_u32_e32 v6, 2, v19
	s_mov_b32 s1, exec_lo
	s_wait_dscnt 0x1
	s_wait_alu 0xfffd
	v_cndmask_b32_e64 v3, 0, 1, vcc_lo
	s_delay_alu instid0(VALU_DEP_1) | instskip(SKIP_1) | instid1(VALU_DEP_1)
	v_lshlrev_b32_e32 v3, 1, v3
	s_wait_dscnt 0x0
	v_add_lshl_u32 v4, v3, v19, 2
	ds_bpermute_b32 v3, v4, v1
	ds_bpermute_b32 v4, v4, v2
	v_cmpx_lt_u32_e64 v6, v5
	s_cbranch_execz .LBB21_27
; %bb.26:
	s_wait_dscnt 0x0
	v_add_f64_e32 v[1:2], v[1:2], v[3:4]
.LBB21_27:
	s_wait_alu 0xfffe
	s_or_b32 exec_lo, exec_lo, s1
	v_cmp_gt_u32_e32 vcc_lo, 28, v19
	v_add_nc_u32_e32 v6, 4, v19
	s_mov_b32 s1, exec_lo
	s_wait_dscnt 0x1
	s_wait_alu 0xfffd
	v_cndmask_b32_e64 v3, 0, 1, vcc_lo
	s_delay_alu instid0(VALU_DEP_1) | instskip(SKIP_1) | instid1(VALU_DEP_1)
	v_lshlrev_b32_e32 v3, 2, v3
	s_wait_dscnt 0x0
	v_add_lshl_u32 v4, v3, v19, 2
	ds_bpermute_b32 v3, v4, v1
	ds_bpermute_b32 v4, v4, v2
	v_cmpx_lt_u32_e64 v6, v5
	s_cbranch_execz .LBB21_29
; %bb.28:
	s_wait_dscnt 0x0
	v_add_f64_e32 v[1:2], v[1:2], v[3:4]
.LBB21_29:
	s_wait_alu 0xfffe
	;; [unrolled: 20-line block ×4, first 2 shown]
	s_or_b32 exec_lo, exec_lo, s1
	s_delay_alu instid0(SALU_CYCLE_1)
	s_mov_b32 s1, exec_lo
	v_cmpx_eq_u32_e32 0, v19
	s_cbranch_execz .LBB21_35
; %bb.34:
	s_wait_dscnt 0x1
	v_lshrrev_b32_e32 v3, 2, v0
	s_delay_alu instid0(VALU_DEP_1)
	v_and_b32_e32 v3, 56, v3
	ds_store_b64 v3, v[1:2] offset:64
.LBB21_35:
	s_wait_alu 0xfffe
	s_or_b32 exec_lo, exec_lo, s1
	s_delay_alu instid0(SALU_CYCLE_1)
	s_mov_b32 s1, exec_lo
	global_wb scope:SCOPE_SE
	s_wait_dscnt 0x0
	s_barrier_signal -1
	s_barrier_wait -1
	global_inv scope:SCOPE_SE
	v_cmpx_gt_u32_e32 8, v0
	s_cbranch_execz .LBB21_43
; %bb.36:
	v_lshlrev_b32_e32 v1, 3, v19
	v_and_b32_e32 v5, 7, v19
	s_add_co_i32 s0, s0, 31
	s_mov_b32 s2, exec_lo
	s_wait_alu 0xfffe
	s_lshr_b32 s0, s0, 5
	ds_load_b64 v[1:2], v1 offset:64
	v_cmp_ne_u32_e32 vcc_lo, 7, v5
	v_add_nc_u32_e32 v6, 1, v5
	s_wait_alu 0xfffd
	v_add_co_ci_u32_e32 v3, vcc_lo, 0, v19, vcc_lo
	s_delay_alu instid0(VALU_DEP_1)
	v_lshlrev_b32_e32 v4, 2, v3
	s_wait_dscnt 0x0
	ds_bpermute_b32 v3, v4, v1
	ds_bpermute_b32 v4, v4, v2
	s_wait_alu 0xfffe
	v_cmpx_gt_u32_e64 s0, v6
	s_cbranch_execz .LBB21_38
; %bb.37:
	s_wait_dscnt 0x0
	v_add_f64_e32 v[1:2], v[1:2], v[3:4]
.LBB21_38:
	s_or_b32 exec_lo, exec_lo, s2
	v_cmp_gt_u32_e32 vcc_lo, 6, v5
	v_add_nc_u32_e32 v6, 2, v5
	s_mov_b32 s2, exec_lo
	s_wait_dscnt 0x1
	s_wait_alu 0xfffd
	v_cndmask_b32_e64 v3, 0, 1, vcc_lo
	s_delay_alu instid0(VALU_DEP_1) | instskip(SKIP_1) | instid1(VALU_DEP_1)
	v_lshlrev_b32_e32 v3, 1, v3
	s_wait_dscnt 0x0
	v_add_lshl_u32 v4, v3, v19, 2
	ds_bpermute_b32 v3, v4, v1
	ds_bpermute_b32 v4, v4, v2
	v_cmpx_gt_u32_e64 s0, v6
	s_cbranch_execz .LBB21_40
; %bb.39:
	s_wait_dscnt 0x0
	v_add_f64_e32 v[1:2], v[1:2], v[3:4]
.LBB21_40:
	s_wait_alu 0xfffe
	s_or_b32 exec_lo, exec_lo, s2
	v_cmp_gt_u32_e32 vcc_lo, 4, v5
	v_add_nc_u32_e32 v5, 4, v5
	s_wait_dscnt 0x1
	s_wait_alu 0xfffd
	v_cndmask_b32_e64 v3, 0, 1, vcc_lo
	s_delay_alu instid0(VALU_DEP_2) | instskip(NEXT) | instid1(VALU_DEP_2)
	v_cmp_gt_u32_e32 vcc_lo, s0, v5
	v_lshlrev_b32_e32 v3, 2, v3
	s_wait_dscnt 0x0
	s_delay_alu instid0(VALU_DEP_1)
	v_add_lshl_u32 v4, v3, v19, 2
	ds_bpermute_b32 v3, v4, v1
	ds_bpermute_b32 v4, v4, v2
	s_and_saveexec_b32 s0, vcc_lo
	s_cbranch_execz .LBB21_42
; %bb.41:
	s_wait_dscnt 0x0
	v_add_f64_e32 v[1:2], v[1:2], v[3:4]
.LBB21_42:
	s_wait_alu 0xfffe
	s_or_b32 exec_lo, exec_lo, s0
.LBB21_43:
	s_wait_alu 0xfffe
	s_or_b32 exec_lo, exec_lo, s1
.LBB21_44:
	s_delay_alu instid0(SALU_CYCLE_1)
	s_mov_b32 s0, exec_lo
	v_cmpx_eq_u32_e32 0, v0
	s_cbranch_execz .LBB21_46
; %bb.45:
	s_delay_alu instid0(VALU_DEP_2)
	v_add_f64_e32 v[0:1], s[6:7], v[1:2]
	s_lshl_b64 s[0:1], s[12:13], 3
	s_cmp_eq_u64 s[8:9], 0
	v_mov_b32_e32 v2, 0
	s_cselect_b32 s2, -1, 0
	s_wait_alu 0xfffe
	s_add_nc_u64 s[0:1], s[10:11], s[0:1]
	s_delay_alu instid0(VALU_DEP_2) | instskip(NEXT) | instid1(VALU_DEP_3)
	v_cndmask_b32_e64 v1, v1, s7, s2
	v_cndmask_b32_e64 v0, v0, s6, s2
	global_store_b64 v2, v[0:1], s[0:1]
.LBB21_46:
	s_nop 0
	s_sendmsg sendmsg(MSG_DEALLOC_VGPRS)
	s_endpgm
	.section	.rodata,"a",@progbits
	.p2align	6, 0x0
	.amdhsa_kernel _ZN7rocprim6detail19block_reduce_kernelILb1ELb0ELj2ENS0_21wrapped_reduce_configINS_14default_configEdEEdN6thrust11hip_rocprim26transform_input_iterator_tIdNS5_6detail15normal_iteratorINS5_10device_ptrIdEEEEZ4mainEUldE_EEPddNS5_4plusIdEEEEvT4_mT5_T6_T7_
		.amdhsa_group_segment_fixed_size 128
		.amdhsa_private_segment_fixed_size 0
		.amdhsa_kernarg_size 44
		.amdhsa_user_sgpr_count 2
		.amdhsa_user_sgpr_dispatch_ptr 0
		.amdhsa_user_sgpr_queue_ptr 0
		.amdhsa_user_sgpr_kernarg_segment_ptr 1
		.amdhsa_user_sgpr_dispatch_id 0
		.amdhsa_user_sgpr_private_segment_size 0
		.amdhsa_wavefront_size32 1
		.amdhsa_uses_dynamic_stack 0
		.amdhsa_enable_private_segment 0
		.amdhsa_system_sgpr_workgroup_id_x 1
		.amdhsa_system_sgpr_workgroup_id_y 0
		.amdhsa_system_sgpr_workgroup_id_z 0
		.amdhsa_system_sgpr_workgroup_info 0
		.amdhsa_system_vgpr_workitem_id 0
		.amdhsa_next_free_vgpr 21
		.amdhsa_next_free_sgpr 16
		.amdhsa_reserve_vcc 1
		.amdhsa_float_round_mode_32 0
		.amdhsa_float_round_mode_16_64 0
		.amdhsa_float_denorm_mode_32 3
		.amdhsa_float_denorm_mode_16_64 3
		.amdhsa_fp16_overflow 0
		.amdhsa_workgroup_processor_mode 1
		.amdhsa_memory_ordered 1
		.amdhsa_forward_progress 0
		.amdhsa_round_robin_scheduling 0
		.amdhsa_exception_fp_ieee_invalid_op 0
		.amdhsa_exception_fp_denorm_src 0
		.amdhsa_exception_fp_ieee_div_zero 0
		.amdhsa_exception_fp_ieee_overflow 0
		.amdhsa_exception_fp_ieee_underflow 0
		.amdhsa_exception_fp_ieee_inexact 0
		.amdhsa_exception_int_div_zero 0
	.end_amdhsa_kernel
	.section	.text._ZN7rocprim6detail19block_reduce_kernelILb1ELb0ELj2ENS0_21wrapped_reduce_configINS_14default_configEdEEdN6thrust11hip_rocprim26transform_input_iterator_tIdNS5_6detail15normal_iteratorINS5_10device_ptrIdEEEEZ4mainEUldE_EEPddNS5_4plusIdEEEEvT4_mT5_T6_T7_,"axG",@progbits,_ZN7rocprim6detail19block_reduce_kernelILb1ELb0ELj2ENS0_21wrapped_reduce_configINS_14default_configEdEEdN6thrust11hip_rocprim26transform_input_iterator_tIdNS5_6detail15normal_iteratorINS5_10device_ptrIdEEEEZ4mainEUldE_EEPddNS5_4plusIdEEEEvT4_mT5_T6_T7_,comdat
.Lfunc_end21:
	.size	_ZN7rocprim6detail19block_reduce_kernelILb1ELb0ELj2ENS0_21wrapped_reduce_configINS_14default_configEdEEdN6thrust11hip_rocprim26transform_input_iterator_tIdNS5_6detail15normal_iteratorINS5_10device_ptrIdEEEEZ4mainEUldE_EEPddNS5_4plusIdEEEEvT4_mT5_T6_T7_, .Lfunc_end21-_ZN7rocprim6detail19block_reduce_kernelILb1ELb0ELj2ENS0_21wrapped_reduce_configINS_14default_configEdEEdN6thrust11hip_rocprim26transform_input_iterator_tIdNS5_6detail15normal_iteratorINS5_10device_ptrIdEEEEZ4mainEUldE_EEPddNS5_4plusIdEEEEvT4_mT5_T6_T7_
                                        ; -- End function
	.section	.AMDGPU.csdata,"",@progbits
; Kernel info:
; codeLenInByte = 2312
; NumSgprs: 18
; NumVgprs: 21
; ScratchSize: 0
; MemoryBound: 0
; FloatMode: 240
; IeeeMode: 1
; LDSByteSize: 128 bytes/workgroup (compile time only)
; SGPRBlocks: 2
; VGPRBlocks: 2
; NumSGPRsForWavesPerEU: 18
; NumVGPRsForWavesPerEU: 21
; Occupancy: 16
; WaveLimiterHint : 1
; COMPUTE_PGM_RSRC2:SCRATCH_EN: 0
; COMPUTE_PGM_RSRC2:USER_SGPR: 2
; COMPUTE_PGM_RSRC2:TRAP_HANDLER: 0
; COMPUTE_PGM_RSRC2:TGID_X_EN: 1
; COMPUTE_PGM_RSRC2:TGID_Y_EN: 0
; COMPUTE_PGM_RSRC2:TGID_Z_EN: 0
; COMPUTE_PGM_RSRC2:TIDIG_COMP_CNT: 0
	.section	.text._ZN7rocprim6detail19block_reduce_kernelILb1ELb0ELj1ENS0_21wrapped_reduce_configINS_14default_configEdEEdN6thrust11hip_rocprim26transform_input_iterator_tIdNS5_6detail15normal_iteratorINS5_10device_ptrIdEEEEZ4mainEUldE_EEPddNS5_4plusIdEEEEvT4_mT5_T6_T7_,"axG",@progbits,_ZN7rocprim6detail19block_reduce_kernelILb1ELb0ELj1ENS0_21wrapped_reduce_configINS_14default_configEdEEdN6thrust11hip_rocprim26transform_input_iterator_tIdNS5_6detail15normal_iteratorINS5_10device_ptrIdEEEEZ4mainEUldE_EEPddNS5_4plusIdEEEEvT4_mT5_T6_T7_,comdat
	.globl	_ZN7rocprim6detail19block_reduce_kernelILb1ELb0ELj1ENS0_21wrapped_reduce_configINS_14default_configEdEEdN6thrust11hip_rocprim26transform_input_iterator_tIdNS5_6detail15normal_iteratorINS5_10device_ptrIdEEEEZ4mainEUldE_EEPddNS5_4plusIdEEEEvT4_mT5_T6_T7_ ; -- Begin function _ZN7rocprim6detail19block_reduce_kernelILb1ELb0ELj1ENS0_21wrapped_reduce_configINS_14default_configEdEEdN6thrust11hip_rocprim26transform_input_iterator_tIdNS5_6detail15normal_iteratorINS5_10device_ptrIdEEEEZ4mainEUldE_EEPddNS5_4plusIdEEEEvT4_mT5_T6_T7_
	.p2align	8
	.type	_ZN7rocprim6detail19block_reduce_kernelILb1ELb0ELj1ENS0_21wrapped_reduce_configINS_14default_configEdEEdN6thrust11hip_rocprim26transform_input_iterator_tIdNS5_6detail15normal_iteratorINS5_10device_ptrIdEEEEZ4mainEUldE_EEPddNS5_4plusIdEEEEvT4_mT5_T6_T7_,@function
_ZN7rocprim6detail19block_reduce_kernelILb1ELb0ELj1ENS0_21wrapped_reduce_configINS_14default_configEdEEdN6thrust11hip_rocprim26transform_input_iterator_tIdNS5_6detail15normal_iteratorINS5_10device_ptrIdEEEEZ4mainEUldE_EEPddNS5_4plusIdEEEEvT4_mT5_T6_T7_: ; @_ZN7rocprim6detail19block_reduce_kernelILb1ELb0ELj1ENS0_21wrapped_reduce_configINS_14default_configEdEEdN6thrust11hip_rocprim26transform_input_iterator_tIdNS5_6detail15normal_iteratorINS5_10device_ptrIdEEEEZ4mainEUldE_EEPddNS5_4plusIdEEEEvT4_mT5_T6_T7_
; %bb.0:
	s_clause 0x2
	s_load_b128 s[16:19], s[0:1], 0x10
	s_load_b64 s[2:3], s[0:1], 0x0
	s_load_b64 s[14:15], s[0:1], 0x20
	s_mov_b32 s1, 0
	s_lshl_b32 s0, ttmp9, 12
	v_lshlrev_b32_e32 v1, 3, v0
	s_lshl_b64 s[4:5], s[0:1], 3
	s_mov_b32 s21, s1
	v_mbcnt_lo_u32_b32 v35, -1, 0
	s_mov_b32 s20, ttmp9
	s_wait_kmcnt 0x0
	s_lshr_b64 s[6:7], s[16:17], 12
	s_add_nc_u64 s[2:3], s[2:3], s[4:5]
	s_cmp_lg_u64 s[6:7], s[20:21]
	v_add_co_u32 v33, s1, s2, v1
	s_delay_alu instid0(VALU_DEP_1)
	v_add_co_ci_u32_e64 v34, null, s3, 0, s1
	s_cbranch_scc0 .LBB22_6
; %bb.1:
	s_clause 0x9
	global_load_b64 v[1:2], v[33:34], off
	global_load_b64 v[3:4], v[33:34], off offset:2048
	global_load_b64 v[5:6], v[33:34], off offset:4096
	;; [unrolled: 1-line block ×9, first 2 shown]
	s_mov_b32 s1, exec_lo
	s_wait_loadcnt 0x8
	v_add_f64_e64 v[1:2], |v[1:2]|, |v[3:4]|
	global_load_b64 v[3:4], v[33:34], off offset:20480
	s_wait_loadcnt 0x8
	v_add_f64_e64 v[1:2], v[1:2], |v[5:6]|
	global_load_b64 v[5:6], v[33:34], off offset:22528
	s_wait_loadcnt 0x8
	v_add_f64_e64 v[1:2], v[1:2], |v[7:8]|
	;; [unrolled: 3-line block ×6, first 2 shown]
	s_wait_loadcnt 0x7
	s_delay_alu instid0(VALU_DEP_1) | instskip(SKIP_1) | instid1(VALU_DEP_1)
	v_add_f64_e64 v[1:2], v[1:2], |v[17:18]|
	s_wait_loadcnt 0x6
	v_add_f64_e64 v[1:2], v[1:2], |v[19:20]|
	s_wait_loadcnt 0x5
	s_delay_alu instid0(VALU_DEP_1) | instskip(SKIP_1) | instid1(VALU_DEP_1)
	v_add_f64_e64 v[1:2], v[1:2], |v[3:4]|
	s_wait_loadcnt 0x4
	v_add_f64_e64 v[1:2], v[1:2], |v[5:6]|
	;; [unrolled: 5-line block ×4, first 2 shown]
	s_delay_alu instid0(VALU_DEP_1) | instskip(NEXT) | instid1(VALU_DEP_2)
	v_mov_b32_dpp v3, v1 quad_perm:[1,0,3,2] row_mask:0xf bank_mask:0xf
	v_mov_b32_dpp v4, v2 quad_perm:[1,0,3,2] row_mask:0xf bank_mask:0xf
	s_delay_alu instid0(VALU_DEP_1) | instskip(NEXT) | instid1(VALU_DEP_1)
	v_add_f64_e32 v[1:2], v[1:2], v[3:4]
	v_mov_b32_dpp v3, v1 quad_perm:[2,3,0,1] row_mask:0xf bank_mask:0xf
	s_delay_alu instid0(VALU_DEP_2) | instskip(NEXT) | instid1(VALU_DEP_1)
	v_mov_b32_dpp v4, v2 quad_perm:[2,3,0,1] row_mask:0xf bank_mask:0xf
	v_add_f64_e32 v[1:2], v[1:2], v[3:4]
	s_delay_alu instid0(VALU_DEP_1) | instskip(NEXT) | instid1(VALU_DEP_2)
	v_mov_b32_dpp v3, v1 row_ror:4 row_mask:0xf bank_mask:0xf
	v_mov_b32_dpp v4, v2 row_ror:4 row_mask:0xf bank_mask:0xf
	s_delay_alu instid0(VALU_DEP_1) | instskip(NEXT) | instid1(VALU_DEP_1)
	v_add_f64_e32 v[1:2], v[1:2], v[3:4]
	v_mov_b32_dpp v3, v1 row_ror:8 row_mask:0xf bank_mask:0xf
	s_delay_alu instid0(VALU_DEP_2) | instskip(NEXT) | instid1(VALU_DEP_1)
	v_mov_b32_dpp v4, v2 row_ror:8 row_mask:0xf bank_mask:0xf
	v_add_f64_e32 v[1:2], v[1:2], v[3:4]
	ds_swizzle_b32 v3, v1 offset:swizzle(BROADCAST,32,15)
	ds_swizzle_b32 v4, v2 offset:swizzle(BROADCAST,32,15)
	s_wait_dscnt 0x0
	v_add_f64_e32 v[1:2], v[1:2], v[3:4]
	v_mov_b32_e32 v3, 0
	ds_bpermute_b32 v1, v3, v1 offset:124
	ds_bpermute_b32 v2, v3, v2 offset:124
	v_cmpx_eq_u32_e32 0, v35
	s_cbranch_execz .LBB22_3
; %bb.2:
	v_lshrrev_b32_e32 v3, 2, v0
	s_delay_alu instid0(VALU_DEP_1)
	v_and_b32_e32 v3, 56, v3
	s_wait_dscnt 0x0
	ds_store_b64 v3, v[1:2]
.LBB22_3:
	s_wait_alu 0xfffe
	s_or_b32 exec_lo, exec_lo, s1
	s_delay_alu instid0(SALU_CYCLE_1)
	s_mov_b32 s1, exec_lo
	global_wb scope:SCOPE_SE
	s_wait_dscnt 0x0
	s_barrier_signal -1
	s_barrier_wait -1
	global_inv scope:SCOPE_SE
	v_cmpx_gt_u32_e32 32, v0
	s_cbranch_execz .LBB22_5
; %bb.4:
	v_and_b32_e32 v5, 7, v35
	s_delay_alu instid0(VALU_DEP_1) | instskip(SKIP_4) | instid1(VALU_DEP_2)
	v_lshlrev_b32_e32 v1, 3, v5
	v_cmp_ne_u32_e32 vcc_lo, 7, v5
	ds_load_b64 v[1:2], v1
	v_add_co_ci_u32_e32 v3, vcc_lo, 0, v35, vcc_lo
	v_cmp_gt_u32_e32 vcc_lo, 6, v5
	v_lshlrev_b32_e32 v4, 2, v3
	s_wait_dscnt 0x0
	ds_bpermute_b32 v3, v4, v1
	ds_bpermute_b32 v4, v4, v2
	s_wait_dscnt 0x0
	v_add_f64_e32 v[1:2], v[1:2], v[3:4]
	s_wait_alu 0xfffd
	v_cndmask_b32_e64 v3, 0, 1, vcc_lo
	v_cmp_gt_u32_e32 vcc_lo, 4, v5
	s_delay_alu instid0(VALU_DEP_2) | instskip(NEXT) | instid1(VALU_DEP_1)
	v_lshlrev_b32_e32 v3, 1, v3
	v_add_lshl_u32 v4, v3, v35, 2
	ds_bpermute_b32 v3, v4, v1
	ds_bpermute_b32 v4, v4, v2
	s_wait_dscnt 0x0
	v_add_f64_e32 v[1:2], v[1:2], v[3:4]
	s_wait_alu 0xfffd
	v_cndmask_b32_e64 v3, 0, 1, vcc_lo
	s_delay_alu instid0(VALU_DEP_1) | instskip(NEXT) | instid1(VALU_DEP_1)
	v_lshlrev_b32_e32 v3, 2, v3
	v_add_lshl_u32 v4, v3, v35, 2
	ds_bpermute_b32 v3, v4, v1
	ds_bpermute_b32 v4, v4, v2
	s_wait_dscnt 0x0
	v_add_f64_e32 v[1:2], v[1:2], v[3:4]
.LBB22_5:
	s_wait_alu 0xfffe
	s_or_b32 exec_lo, exec_lo, s1
	s_branch .LBB22_60
.LBB22_6:
                                        ; implicit-def: $vgpr1_vgpr2
	s_cbranch_execz .LBB22_60
; %bb.7:
	s_sub_co_i32 s22, s16, s0
	s_mov_b32 s0, exec_lo
                                        ; implicit-def: $vgpr1_vgpr2_vgpr3_vgpr4_vgpr5_vgpr6_vgpr7_vgpr8_vgpr9_vgpr10_vgpr11_vgpr12_vgpr13_vgpr14_vgpr15_vgpr16_vgpr17_vgpr18_vgpr19_vgpr20_vgpr21_vgpr22_vgpr23_vgpr24_vgpr25_vgpr26_vgpr27_vgpr28_vgpr29_vgpr30_vgpr31_vgpr32
	v_cmpx_gt_u32_e64 s22, v0
	s_cbranch_execz .LBB22_9
; %bb.8:
	global_load_b64 v[1:2], v[33:34], off
	s_wait_loadcnt 0x0
	v_and_b32_e32 v2, 0x7fffffff, v2
.LBB22_9:
	s_wait_alu 0xfffe
	s_or_b32 exec_lo, exec_lo, s0
	v_or_b32_e32 v36, 0x100, v0
	s_delay_alu instid0(VALU_DEP_1)
	v_cmp_gt_u32_e32 vcc_lo, s22, v36
	s_and_saveexec_b32 s0, vcc_lo
	s_cbranch_execz .LBB22_11
; %bb.10:
	global_load_b64 v[3:4], v[33:34], off offset:2048
	s_wait_loadcnt 0x0
	v_and_b32_e32 v4, 0x7fffffff, v4
.LBB22_11:
	s_wait_alu 0xfffe
	s_or_b32 exec_lo, exec_lo, s0
	v_or_b32_e32 v36, 0x200, v0
	s_delay_alu instid0(VALU_DEP_1) | instskip(NEXT) | instid1(VALU_DEP_1)
	v_cmp_gt_u32_e64 s0, s22, v36
	s_and_saveexec_b32 s1, s0
	s_cbranch_execz .LBB22_13
; %bb.12:
	global_load_b64 v[5:6], v[33:34], off offset:4096
	s_wait_loadcnt 0x0
	v_and_b32_e32 v6, 0x7fffffff, v6
.LBB22_13:
	s_wait_alu 0xfffe
	s_or_b32 exec_lo, exec_lo, s1
	v_or_b32_e32 v36, 0x300, v0
	s_delay_alu instid0(VALU_DEP_1) | instskip(NEXT) | instid1(VALU_DEP_1)
	v_cmp_gt_u32_e64 s1, s22, v36
	s_and_saveexec_b32 s2, s1
	;; [unrolled: 12-line block ×4, first 2 shown]
	s_cbranch_execz .LBB22_19
; %bb.18:
	global_load_b64 v[11:12], v[33:34], off offset:10240
	s_wait_loadcnt 0x0
	v_and_b32_e32 v12, 0x7fffffff, v12
.LBB22_19:
	s_or_b32 exec_lo, exec_lo, s4
	v_or_b32_e32 v36, 0x600, v0
	s_delay_alu instid0(VALU_DEP_1) | instskip(NEXT) | instid1(VALU_DEP_1)
	v_cmp_gt_u32_e64 s4, s22, v36
	s_and_saveexec_b32 s5, s4
	s_cbranch_execz .LBB22_21
; %bb.20:
	global_load_b64 v[13:14], v[33:34], off offset:12288
	s_wait_loadcnt 0x0
	v_and_b32_e32 v14, 0x7fffffff, v14
.LBB22_21:
	s_or_b32 exec_lo, exec_lo, s5
	v_or_b32_e32 v36, 0x700, v0
	s_delay_alu instid0(VALU_DEP_1) | instskip(NEXT) | instid1(VALU_DEP_1)
	v_cmp_gt_u32_e64 s5, s22, v36
	s_and_saveexec_b32 s6, s5
	;; [unrolled: 11-line block ×10, first 2 shown]
	s_cbranch_execz .LBB22_39
; %bb.38:
	global_load_b64 v[31:32], v[33:34], off offset:30720
	s_wait_loadcnt 0x0
	v_and_b32_e32 v32, 0x7fffffff, v32
.LBB22_39:
	s_wait_alu 0xfffe
	s_or_b32 exec_lo, exec_lo, s23
	v_add_f64_e32 v[3:4], v[1:2], v[3:4]
	s_delay_alu instid0(VALU_DEP_1) | instskip(SKIP_1) | instid1(VALU_DEP_2)
	v_dual_cndmask_b32 v2, v2, v4 :: v_dual_cndmask_b32 v1, v1, v3
	v_cmp_ne_u32_e32 vcc_lo, 31, v35
	v_add_f64_e32 v[3:4], v[5:6], v[1:2]
	s_wait_alu 0xfffd
	v_add_co_ci_u32_e32 v5, vcc_lo, 0, v35, vcc_lo
	v_add_nc_u32_e32 v6, 1, v35
	s_delay_alu instid0(VALU_DEP_2) | instskip(NEXT) | instid1(VALU_DEP_4)
	v_lshlrev_b32_e32 v5, 2, v5
	v_cndmask_b32_e64 v2, v2, v4, s0
	v_cndmask_b32_e64 v1, v1, v3, s0
	s_min_u32 s0, s22, 0x100
	s_delay_alu instid0(VALU_DEP_1) | instskip(NEXT) | instid1(VALU_DEP_1)
	v_add_f64_e32 v[3:4], v[7:8], v[1:2]
	v_cndmask_b32_e64 v2, v2, v4, s1
	s_delay_alu instid0(VALU_DEP_2) | instskip(SKIP_1) | instid1(VALU_DEP_1)
	v_cndmask_b32_e64 v1, v1, v3, s1
	s_mov_b32 s1, exec_lo
	v_add_f64_e32 v[3:4], v[9:10], v[1:2]
	s_delay_alu instid0(VALU_DEP_1) | instskip(NEXT) | instid1(VALU_DEP_2)
	v_cndmask_b32_e64 v2, v2, v4, s2
	v_cndmask_b32_e64 v1, v1, v3, s2
	s_delay_alu instid0(VALU_DEP_1) | instskip(NEXT) | instid1(VALU_DEP_1)
	v_add_f64_e32 v[3:4], v[11:12], v[1:2]
	v_cndmask_b32_e64 v2, v2, v4, s3
	s_delay_alu instid0(VALU_DEP_2) | instskip(NEXT) | instid1(VALU_DEP_1)
	v_cndmask_b32_e64 v1, v1, v3, s3
	v_add_f64_e32 v[3:4], v[13:14], v[1:2]
	s_delay_alu instid0(VALU_DEP_1) | instskip(NEXT) | instid1(VALU_DEP_2)
	v_cndmask_b32_e64 v2, v2, v4, s4
	v_cndmask_b32_e64 v1, v1, v3, s4
	s_delay_alu instid0(VALU_DEP_1) | instskip(NEXT) | instid1(VALU_DEP_1)
	v_add_f64_e32 v[3:4], v[15:16], v[1:2]
	v_cndmask_b32_e64 v2, v2, v4, s5
	s_delay_alu instid0(VALU_DEP_2) | instskip(NEXT) | instid1(VALU_DEP_1)
	v_cndmask_b32_e64 v1, v1, v3, s5
	;; [unrolled: 9-line block ×5, first 2 shown]
	v_add_f64_e32 v[3:4], v[29:30], v[1:2]
	s_delay_alu instid0(VALU_DEP_1) | instskip(NEXT) | instid1(VALU_DEP_2)
	v_cndmask_b32_e64 v2, v2, v4, s12
	v_cndmask_b32_e64 v1, v1, v3, s12
	s_delay_alu instid0(VALU_DEP_1) | instskip(NEXT) | instid1(VALU_DEP_1)
	v_add_f64_e32 v[3:4], v[31:32], v[1:2]
	v_cndmask_b32_e64 v1, v1, v3, s13
	s_delay_alu instid0(VALU_DEP_2) | instskip(SKIP_4) | instid1(VALU_DEP_1)
	v_cndmask_b32_e64 v2, v2, v4, s13
	ds_bpermute_b32 v3, v5, v1
	ds_bpermute_b32 v4, v5, v2
	v_and_b32_e32 v5, 0xe0, v0
	s_wait_alu 0xfffe
	v_sub_nc_u32_e64 v5, s0, v5 clamp
	s_delay_alu instid0(VALU_DEP_1)
	v_cmpx_lt_u32_e64 v6, v5
	s_cbranch_execz .LBB22_41
; %bb.40:
	s_wait_dscnt 0x0
	v_add_f64_e32 v[1:2], v[1:2], v[3:4]
.LBB22_41:
	s_or_b32 exec_lo, exec_lo, s1
	v_cmp_gt_u32_e32 vcc_lo, 30, v35
	v_add_nc_u32_e32 v6, 2, v35
	s_mov_b32 s1, exec_lo
	s_wait_dscnt 0x1
	s_wait_alu 0xfffd
	v_cndmask_b32_e64 v3, 0, 1, vcc_lo
	s_delay_alu instid0(VALU_DEP_1) | instskip(SKIP_1) | instid1(VALU_DEP_1)
	v_lshlrev_b32_e32 v3, 1, v3
	s_wait_dscnt 0x0
	v_add_lshl_u32 v4, v3, v35, 2
	ds_bpermute_b32 v3, v4, v1
	ds_bpermute_b32 v4, v4, v2
	v_cmpx_lt_u32_e64 v6, v5
	s_cbranch_execz .LBB22_43
; %bb.42:
	s_wait_dscnt 0x0
	v_add_f64_e32 v[1:2], v[1:2], v[3:4]
.LBB22_43:
	s_wait_alu 0xfffe
	s_or_b32 exec_lo, exec_lo, s1
	v_cmp_gt_u32_e32 vcc_lo, 28, v35
	v_add_nc_u32_e32 v6, 4, v35
	s_mov_b32 s1, exec_lo
	s_wait_dscnt 0x1
	s_wait_alu 0xfffd
	v_cndmask_b32_e64 v3, 0, 1, vcc_lo
	s_delay_alu instid0(VALU_DEP_1) | instskip(SKIP_1) | instid1(VALU_DEP_1)
	v_lshlrev_b32_e32 v3, 2, v3
	s_wait_dscnt 0x0
	v_add_lshl_u32 v4, v3, v35, 2
	ds_bpermute_b32 v3, v4, v1
	ds_bpermute_b32 v4, v4, v2
	v_cmpx_lt_u32_e64 v6, v5
	s_cbranch_execz .LBB22_45
; %bb.44:
	s_wait_dscnt 0x0
	v_add_f64_e32 v[1:2], v[1:2], v[3:4]
.LBB22_45:
	s_wait_alu 0xfffe
	;; [unrolled: 20-line block ×4, first 2 shown]
	s_or_b32 exec_lo, exec_lo, s1
	s_delay_alu instid0(SALU_CYCLE_1)
	s_mov_b32 s1, exec_lo
	v_cmpx_eq_u32_e32 0, v35
	s_cbranch_execz .LBB22_51
; %bb.50:
	s_wait_dscnt 0x1
	v_lshrrev_b32_e32 v3, 2, v0
	s_delay_alu instid0(VALU_DEP_1)
	v_and_b32_e32 v3, 56, v3
	ds_store_b64 v3, v[1:2] offset:64
.LBB22_51:
	s_wait_alu 0xfffe
	s_or_b32 exec_lo, exec_lo, s1
	s_delay_alu instid0(SALU_CYCLE_1)
	s_mov_b32 s1, exec_lo
	global_wb scope:SCOPE_SE
	s_wait_dscnt 0x0
	s_barrier_signal -1
	s_barrier_wait -1
	global_inv scope:SCOPE_SE
	v_cmpx_gt_u32_e32 8, v0
	s_cbranch_execz .LBB22_59
; %bb.52:
	v_lshlrev_b32_e32 v1, 3, v35
	v_and_b32_e32 v5, 7, v35
	s_add_co_i32 s0, s0, 31
	s_mov_b32 s2, exec_lo
	s_wait_alu 0xfffe
	s_lshr_b32 s0, s0, 5
	ds_load_b64 v[1:2], v1 offset:64
	v_cmp_ne_u32_e32 vcc_lo, 7, v5
	v_add_nc_u32_e32 v6, 1, v5
	s_wait_alu 0xfffd
	v_add_co_ci_u32_e32 v3, vcc_lo, 0, v35, vcc_lo
	s_delay_alu instid0(VALU_DEP_1)
	v_lshlrev_b32_e32 v4, 2, v3
	s_wait_dscnt 0x0
	ds_bpermute_b32 v3, v4, v1
	ds_bpermute_b32 v4, v4, v2
	s_wait_alu 0xfffe
	v_cmpx_gt_u32_e64 s0, v6
	s_cbranch_execz .LBB22_54
; %bb.53:
	s_wait_dscnt 0x0
	v_add_f64_e32 v[1:2], v[1:2], v[3:4]
.LBB22_54:
	s_or_b32 exec_lo, exec_lo, s2
	v_cmp_gt_u32_e32 vcc_lo, 6, v5
	v_add_nc_u32_e32 v6, 2, v5
	s_mov_b32 s2, exec_lo
	s_wait_dscnt 0x1
	s_wait_alu 0xfffd
	v_cndmask_b32_e64 v3, 0, 1, vcc_lo
	s_delay_alu instid0(VALU_DEP_1) | instskip(SKIP_1) | instid1(VALU_DEP_1)
	v_lshlrev_b32_e32 v3, 1, v3
	s_wait_dscnt 0x0
	v_add_lshl_u32 v4, v3, v35, 2
	ds_bpermute_b32 v3, v4, v1
	ds_bpermute_b32 v4, v4, v2
	v_cmpx_gt_u32_e64 s0, v6
	s_cbranch_execz .LBB22_56
; %bb.55:
	s_wait_dscnt 0x0
	v_add_f64_e32 v[1:2], v[1:2], v[3:4]
.LBB22_56:
	s_wait_alu 0xfffe
	s_or_b32 exec_lo, exec_lo, s2
	v_cmp_gt_u32_e32 vcc_lo, 4, v5
	v_add_nc_u32_e32 v5, 4, v5
	s_wait_dscnt 0x1
	s_wait_alu 0xfffd
	v_cndmask_b32_e64 v3, 0, 1, vcc_lo
	s_delay_alu instid0(VALU_DEP_2) | instskip(NEXT) | instid1(VALU_DEP_2)
	v_cmp_gt_u32_e32 vcc_lo, s0, v5
	v_lshlrev_b32_e32 v3, 2, v3
	s_wait_dscnt 0x0
	s_delay_alu instid0(VALU_DEP_1)
	v_add_lshl_u32 v4, v3, v35, 2
	ds_bpermute_b32 v3, v4, v1
	ds_bpermute_b32 v4, v4, v2
	s_and_saveexec_b32 s0, vcc_lo
	s_cbranch_execz .LBB22_58
; %bb.57:
	s_wait_dscnt 0x0
	v_add_f64_e32 v[1:2], v[1:2], v[3:4]
.LBB22_58:
	s_wait_alu 0xfffe
	s_or_b32 exec_lo, exec_lo, s0
.LBB22_59:
	s_wait_alu 0xfffe
	s_or_b32 exec_lo, exec_lo, s1
.LBB22_60:
	s_delay_alu instid0(SALU_CYCLE_1)
	s_mov_b32 s0, exec_lo
	v_cmpx_eq_u32_e32 0, v0
	s_cbranch_execz .LBB22_62
; %bb.61:
	s_delay_alu instid0(VALU_DEP_2)
	v_add_f64_e32 v[0:1], s[14:15], v[1:2]
	s_lshl_b64 s[0:1], s[20:21], 3
	s_cmp_eq_u64 s[16:17], 0
	v_mov_b32_e32 v2, 0
	s_cselect_b32 s2, -1, 0
	s_wait_alu 0xfffe
	s_add_nc_u64 s[0:1], s[18:19], s[0:1]
	s_delay_alu instid0(VALU_DEP_2) | instskip(NEXT) | instid1(VALU_DEP_3)
	v_cndmask_b32_e64 v1, v1, s15, s2
	v_cndmask_b32_e64 v0, v0, s14, s2
	global_store_b64 v2, v[0:1], s[0:1]
.LBB22_62:
	s_nop 0
	s_sendmsg sendmsg(MSG_DEALLOC_VGPRS)
	s_endpgm
	.section	.rodata,"a",@progbits
	.p2align	6, 0x0
	.amdhsa_kernel _ZN7rocprim6detail19block_reduce_kernelILb1ELb0ELj1ENS0_21wrapped_reduce_configINS_14default_configEdEEdN6thrust11hip_rocprim26transform_input_iterator_tIdNS5_6detail15normal_iteratorINS5_10device_ptrIdEEEEZ4mainEUldE_EEPddNS5_4plusIdEEEEvT4_mT5_T6_T7_
		.amdhsa_group_segment_fixed_size 128
		.amdhsa_private_segment_fixed_size 0
		.amdhsa_kernarg_size 44
		.amdhsa_user_sgpr_count 2
		.amdhsa_user_sgpr_dispatch_ptr 0
		.amdhsa_user_sgpr_queue_ptr 0
		.amdhsa_user_sgpr_kernarg_segment_ptr 1
		.amdhsa_user_sgpr_dispatch_id 0
		.amdhsa_user_sgpr_private_segment_size 0
		.amdhsa_wavefront_size32 1
		.amdhsa_uses_dynamic_stack 0
		.amdhsa_enable_private_segment 0
		.amdhsa_system_sgpr_workgroup_id_x 1
		.amdhsa_system_sgpr_workgroup_id_y 0
		.amdhsa_system_sgpr_workgroup_id_z 0
		.amdhsa_system_sgpr_workgroup_info 0
		.amdhsa_system_vgpr_workitem_id 0
		.amdhsa_next_free_vgpr 37
		.amdhsa_next_free_sgpr 24
		.amdhsa_reserve_vcc 1
		.amdhsa_float_round_mode_32 0
		.amdhsa_float_round_mode_16_64 0
		.amdhsa_float_denorm_mode_32 3
		.amdhsa_float_denorm_mode_16_64 3
		.amdhsa_fp16_overflow 0
		.amdhsa_workgroup_processor_mode 1
		.amdhsa_memory_ordered 1
		.amdhsa_forward_progress 0
		.amdhsa_round_robin_scheduling 0
		.amdhsa_exception_fp_ieee_invalid_op 0
		.amdhsa_exception_fp_denorm_src 0
		.amdhsa_exception_fp_ieee_div_zero 0
		.amdhsa_exception_fp_ieee_overflow 0
		.amdhsa_exception_fp_ieee_underflow 0
		.amdhsa_exception_fp_ieee_inexact 0
		.amdhsa_exception_int_div_zero 0
	.end_amdhsa_kernel
	.section	.text._ZN7rocprim6detail19block_reduce_kernelILb1ELb0ELj1ENS0_21wrapped_reduce_configINS_14default_configEdEEdN6thrust11hip_rocprim26transform_input_iterator_tIdNS5_6detail15normal_iteratorINS5_10device_ptrIdEEEEZ4mainEUldE_EEPddNS5_4plusIdEEEEvT4_mT5_T6_T7_,"axG",@progbits,_ZN7rocprim6detail19block_reduce_kernelILb1ELb0ELj1ENS0_21wrapped_reduce_configINS_14default_configEdEEdN6thrust11hip_rocprim26transform_input_iterator_tIdNS5_6detail15normal_iteratorINS5_10device_ptrIdEEEEZ4mainEUldE_EEPddNS5_4plusIdEEEEvT4_mT5_T6_T7_,comdat
.Lfunc_end22:
	.size	_ZN7rocprim6detail19block_reduce_kernelILb1ELb0ELj1ENS0_21wrapped_reduce_configINS_14default_configEdEEdN6thrust11hip_rocprim26transform_input_iterator_tIdNS5_6detail15normal_iteratorINS5_10device_ptrIdEEEEZ4mainEUldE_EEPddNS5_4plusIdEEEEvT4_mT5_T6_T7_, .Lfunc_end22-_ZN7rocprim6detail19block_reduce_kernelILb1ELb0ELj1ENS0_21wrapped_reduce_configINS_14default_configEdEEdN6thrust11hip_rocprim26transform_input_iterator_tIdNS5_6detail15normal_iteratorINS5_10device_ptrIdEEEEZ4mainEUldE_EEPddNS5_4plusIdEEEEvT4_mT5_T6_T7_
                                        ; -- End function
	.section	.AMDGPU.csdata,"",@progbits
; Kernel info:
; codeLenInByte = 3164
; NumSgprs: 26
; NumVgprs: 37
; ScratchSize: 0
; MemoryBound: 0
; FloatMode: 240
; IeeeMode: 1
; LDSByteSize: 128 bytes/workgroup (compile time only)
; SGPRBlocks: 3
; VGPRBlocks: 4
; NumSGPRsForWavesPerEU: 26
; NumVGPRsForWavesPerEU: 37
; Occupancy: 16
; WaveLimiterHint : 1
; COMPUTE_PGM_RSRC2:SCRATCH_EN: 0
; COMPUTE_PGM_RSRC2:USER_SGPR: 2
; COMPUTE_PGM_RSRC2:TRAP_HANDLER: 0
; COMPUTE_PGM_RSRC2:TGID_X_EN: 1
; COMPUTE_PGM_RSRC2:TGID_Y_EN: 0
; COMPUTE_PGM_RSRC2:TGID_Z_EN: 0
; COMPUTE_PGM_RSRC2:TIDIG_COMP_CNT: 0
	.text
	.p2alignl 7, 3214868480
	.fill 96, 4, 3214868480
	.type	__hip_cuid_d471313abf5737b4,@object ; @__hip_cuid_d471313abf5737b4
	.section	.bss,"aw",@nobits
	.globl	__hip_cuid_d471313abf5737b4
__hip_cuid_d471313abf5737b4:
	.byte	0                               ; 0x0
	.size	__hip_cuid_d471313abf5737b4, 1

	.ident	"AMD clang version 19.0.0git (https://github.com/RadeonOpenCompute/llvm-project roc-6.4.0 25133 c7fe45cf4b819c5991fe208aaa96edf142730f1d)"
	.section	".note.GNU-stack","",@progbits
	.addrsig
	.addrsig_sym __hip_cuid_d471313abf5737b4
	.amdgpu_metadata
---
amdhsa.kernels:
  - .args:
      - .offset:         0
        .size:           16
        .value_kind:     by_value
      - .offset:         16
        .size:           8
        .value_kind:     by_value
      - .offset:         24
        .size:           8
        .value_kind:     by_value
    .group_segment_fixed_size: 0
    .kernarg_segment_align: 8
    .kernarg_segment_size: 32
    .language:       OpenCL C
    .language_version:
      - 2
      - 0
    .max_flat_workgroup_size: 256
    .name:           _ZN6thrust11hip_rocprim14__parallel_for6kernelILj256ENS0_20__uninitialized_fill7functorINS_10device_ptrIdEEdEEmLj1EEEvT0_T1_S9_
    .private_segment_fixed_size: 0
    .sgpr_count:     12
    .sgpr_spill_count: 0
    .symbol:         _ZN6thrust11hip_rocprim14__parallel_for6kernelILj256ENS0_20__uninitialized_fill7functorINS_10device_ptrIdEEdEEmLj1EEEvT0_T1_S9_.kd
    .uniform_work_group_size: 1
    .uses_dynamic_stack: false
    .vgpr_count:     4
    .vgpr_spill_count: 0
    .wavefront_size: 32
    .workgroup_processor_mode: 1
  - .args:
      - .offset:         0
        .size:           32
        .value_kind:     by_value
      - .offset:         32
        .size:           8
        .value_kind:     by_value
      - .offset:         40
        .size:           8
        .value_kind:     by_value
    .group_segment_fixed_size: 0
    .kernarg_segment_align: 8
    .kernarg_segment_size: 48
    .language:       OpenCL C
    .language_version:
      - 2
      - 0
    .max_flat_workgroup_size: 256
    .name:           _ZN6thrust11hip_rocprim14__parallel_for6kernelILj256ENS0_11__transform17unary_transform_fINS_17counting_iteratorIlNS_11use_defaultES6_S6_EENS_6detail15normal_iteratorINS_10device_ptrIdEEEENS3_14no_stencil_tagEZNS0_6fill_nINS0_5par_tESC_ldEET0_RNS0_16execution_policyIT_EESG_T1_RKT2_EUllE_NS3_21always_true_predicateEEElLj1EEEvSG_SL_SL_
    .private_segment_fixed_size: 0
    .sgpr_count:     10
    .sgpr_spill_count: 0
    .symbol:         _ZN6thrust11hip_rocprim14__parallel_for6kernelILj256ENS0_11__transform17unary_transform_fINS_17counting_iteratorIlNS_11use_defaultES6_S6_EENS_6detail15normal_iteratorINS_10device_ptrIdEEEENS3_14no_stencil_tagEZNS0_6fill_nINS0_5par_tESC_ldEET0_RNS0_16execution_policyIT_EESG_T1_RKT2_EUllE_NS3_21always_true_predicateEEElLj1EEEvSG_SL_SL_.kd
    .uniform_work_group_size: 1
    .uses_dynamic_stack: false
    .vgpr_count:     4
    .vgpr_spill_count: 0
    .wavefront_size: 32
    .workgroup_processor_mode: 1
  - .args:
      - .offset:         0
        .size:           32
        .value_kind:     by_value
      - .offset:         32
        .size:           8
        .value_kind:     by_value
      - .offset:         40
        .size:           8
        .value_kind:     by_value
    .group_segment_fixed_size: 0
    .kernarg_segment_align: 8
    .kernarg_segment_size: 48
    .language:       OpenCL C
    .language_version:
      - 2
      - 0
    .max_flat_workgroup_size: 256
    .name:           _ZN6thrust11hip_rocprim14__parallel_for6kernelILj256ENS0_10for_each_fINS_12zip_iteratorINS_5tupleINS_6detail15normal_iteratorINS_10device_ptrIdEEEESA_SA_NS_9null_typeESB_SB_SB_SB_SB_SB_EEEENS6_16wrapped_functionIZ4mainEUlNS5_IRdddSB_SB_SB_SB_SB_SB_SB_EEE_vEEEElLj1EEEvT0_T1_SL_
    .private_segment_fixed_size: 0
    .sgpr_count:     14
    .sgpr_spill_count: 0
    .symbol:         _ZN6thrust11hip_rocprim14__parallel_for6kernelILj256ENS0_10for_each_fINS_12zip_iteratorINS_5tupleINS_6detail15normal_iteratorINS_10device_ptrIdEEEESA_SA_NS_9null_typeESB_SB_SB_SB_SB_SB_EEEENS6_16wrapped_functionIZ4mainEUlNS5_IRdddSB_SB_SB_SB_SB_SB_SB_EEE_vEEEElLj1EEEvT0_T1_SL_.kd
    .uniform_work_group_size: 1
    .uses_dynamic_stack: false
    .vgpr_count:     8
    .vgpr_spill_count: 0
    .wavefront_size: 32
    .workgroup_processor_mode: 1
  - .args:
      - .address_space:  global
        .offset:         0
        .size:           8
        .value_kind:     global_buffer
      - .offset:         8
        .size:           8
        .value_kind:     by_value
      - .address_space:  global
        .offset:         16
        .size:           8
        .value_kind:     global_buffer
      - .offset:         24
        .size:           8
        .value_kind:     by_value
      - .offset:         32
        .size:           1
        .value_kind:     by_value
    .group_segment_fixed_size: 128
    .kernarg_segment_align: 8
    .kernarg_segment_size: 36
    .language:       OpenCL C
    .language_version:
      - 2
      - 0
    .max_flat_workgroup_size: 256
    .name:           _ZN7rocprim6detail19block_reduce_kernelILb0ELb1ELj1ENS0_21wrapped_reduce_configINS_14default_configEdEEdPdS5_dN6thrust4plusIdEEEEvT4_mT5_T6_T7_
    .private_segment_fixed_size: 0
    .sgpr_count:     26
    .sgpr_spill_count: 0
    .symbol:         _ZN7rocprim6detail19block_reduce_kernelILb0ELb1ELj1ENS0_21wrapped_reduce_configINS_14default_configEdEEdPdS5_dN6thrust4plusIdEEEEvT4_mT5_T6_T7_.kd
    .uniform_work_group_size: 1
    .uses_dynamic_stack: false
    .vgpr_count:     37
    .vgpr_spill_count: 0
    .wavefront_size: 32
    .workgroup_processor_mode: 1
  - .args:
      - .address_space:  global
        .offset:         0
        .size:           8
        .value_kind:     global_buffer
      - .offset:         8
        .size:           8
        .value_kind:     by_value
      - .address_space:  global
        .offset:         16
        .size:           8
        .value_kind:     global_buffer
      - .offset:         24
        .size:           8
        .value_kind:     by_value
      - .offset:         32
        .size:           1
        .value_kind:     by_value
    .group_segment_fixed_size: 128
    .kernarg_segment_align: 8
    .kernarg_segment_size: 36
    .language:       OpenCL C
    .language_version:
      - 2
      - 0
    .max_flat_workgroup_size: 256
    .name:           _ZN7rocprim6detail19block_reduce_kernelILb1ELb1ELj2ENS0_21wrapped_reduce_configINS_14default_configEdEEdPdS5_dN6thrust4plusIdEEEEvT4_mT5_T6_T7_
    .private_segment_fixed_size: 0
    .sgpr_count:     46
    .sgpr_spill_count: 0
    .symbol:         _ZN7rocprim6detail19block_reduce_kernelILb1ELb1ELj2ENS0_21wrapped_reduce_configINS_14default_configEdEEdPdS5_dN6thrust4plusIdEEEEvT4_mT5_T6_T7_.kd
    .uniform_work_group_size: 1
    .uses_dynamic_stack: false
    .vgpr_count:     68
    .vgpr_spill_count: 0
    .wavefront_size: 32
    .workgroup_processor_mode: 1
  - .args:
      - .address_space:  global
        .offset:         0
        .size:           8
        .value_kind:     global_buffer
      - .offset:         8
        .size:           8
        .value_kind:     by_value
      - .address_space:  global
        .offset:         16
        .size:           8
        .value_kind:     global_buffer
      - .offset:         24
        .size:           8
        .value_kind:     by_value
      - .offset:         32
        .size:           1
        .value_kind:     by_value
    .group_segment_fixed_size: 128
    .kernarg_segment_align: 8
    .kernarg_segment_size: 36
    .language:       OpenCL C
    .language_version:
      - 2
      - 0
    .max_flat_workgroup_size: 256
    .name:           _ZN7rocprim6detail19block_reduce_kernelILb1ELb1ELj4ENS0_21wrapped_reduce_configINS_14default_configEdEEdPdS5_dN6thrust4plusIdEEEEvT4_mT5_T6_T7_
    .private_segment_fixed_size: 0
    .sgpr_count:     76
    .sgpr_spill_count: 0
    .symbol:         _ZN7rocprim6detail19block_reduce_kernelILb1ELb1ELj4ENS0_21wrapped_reduce_configINS_14default_configEdEEdPdS5_dN6thrust4plusIdEEEEvT4_mT5_T6_T7_.kd
    .uniform_work_group_size: 1
    .uses_dynamic_stack: false
    .vgpr_count:     132
    .vgpr_spill_count: 0
    .wavefront_size: 32
    .workgroup_processor_mode: 1
  - .args:
      - .address_space:  global
        .offset:         0
        .size:           8
        .value_kind:     global_buffer
      - .offset:         8
        .size:           8
        .value_kind:     by_value
      - .address_space:  global
        .offset:         16
        .size:           8
        .value_kind:     global_buffer
      - .offset:         24
        .size:           8
        .value_kind:     by_value
      - .offset:         32
        .size:           1
        .value_kind:     by_value
    .group_segment_fixed_size: 128
    .kernarg_segment_align: 8
    .kernarg_segment_size: 36
    .language:       OpenCL C
    .language_version:
      - 2
      - 0
    .max_flat_workgroup_size: 256
    .name:           _ZN7rocprim6detail19block_reduce_kernelILb1ELb1ELj8ENS0_21wrapped_reduce_configINS_14default_configEdEEdPdS5_dN6thrust4plusIdEEEEvT4_mT5_T6_T7_
    .private_segment_fixed_size: 28
    .sgpr_count:     107
    .sgpr_spill_count: 34
    .symbol:         _ZN7rocprim6detail19block_reduce_kernelILb1ELb1ELj8ENS0_21wrapped_reduce_configINS_14default_configEdEEdPdS5_dN6thrust4plusIdEEEEvT4_mT5_T6_T7_.kd
    .uniform_work_group_size: 1
    .uses_dynamic_stack: false
    .vgpr_count:     256
    .vgpr_spill_count: 6
    .wavefront_size: 32
    .workgroup_processor_mode: 1
  - .args:
      - .address_space:  global
        .offset:         0
        .size:           8
        .value_kind:     global_buffer
      - .offset:         8
        .size:           8
        .value_kind:     by_value
      - .address_space:  global
        .offset:         16
        .size:           8
        .value_kind:     global_buffer
      - .offset:         24
        .size:           8
        .value_kind:     by_value
      - .offset:         32
        .size:           1
        .value_kind:     by_value
    .group_segment_fixed_size: 128
    .kernarg_segment_align: 8
    .kernarg_segment_size: 36
    .language:       OpenCL C
    .language_version:
      - 2
      - 0
    .max_flat_workgroup_size: 256
    .name:           _ZN7rocprim6detail19block_reduce_kernelILb1ELb1ELj16ENS0_21wrapped_reduce_configINS_14default_configEdEEdPdS5_dN6thrust4plusIdEEEEvT4_mT5_T6_T7_
    .private_segment_fixed_size: 1068
    .sgpr_count:     107
    .sgpr_spill_count: 162
    .symbol:         _ZN7rocprim6detail19block_reduce_kernelILb1ELb1ELj16ENS0_21wrapped_reduce_configINS_14default_configEdEEdPdS5_dN6thrust4plusIdEEEEvT4_mT5_T6_T7_.kd
    .uniform_work_group_size: 1
    .uses_dynamic_stack: false
    .vgpr_count:     255
    .vgpr_spill_count: 266
    .wavefront_size: 32
    .workgroup_processor_mode: 1
  - .args:
      - .address_space:  global
        .offset:         0
        .size:           8
        .value_kind:     global_buffer
      - .offset:         8
        .size:           8
        .value_kind:     by_value
      - .address_space:  global
        .offset:         16
        .size:           8
        .value_kind:     global_buffer
      - .offset:         24
        .size:           8
        .value_kind:     by_value
      - .offset:         32
        .size:           1
        .value_kind:     by_value
    .group_segment_fixed_size: 128
    .kernarg_segment_align: 8
    .kernarg_segment_size: 36
    .language:       OpenCL C
    .language_version:
      - 2
      - 0
    .max_flat_workgroup_size: 256
    .name:           _ZN7rocprim6detail19block_reduce_kernelILb1ELb0ELj16ENS0_21wrapped_reduce_configINS_14default_configEdEEdPdS5_dN6thrust4plusIdEEEEvT4_mT5_T6_T7_
    .private_segment_fixed_size: 0
    .sgpr_count:     16
    .sgpr_spill_count: 0
    .symbol:         _ZN7rocprim6detail19block_reduce_kernelILb1ELb0ELj16ENS0_21wrapped_reduce_configINS_14default_configEdEEdPdS5_dN6thrust4plusIdEEEEvT4_mT5_T6_T7_.kd
    .uniform_work_group_size: 1
    .uses_dynamic_stack: false
    .vgpr_count:     8
    .vgpr_spill_count: 0
    .wavefront_size: 32
    .workgroup_processor_mode: 1
  - .args:
      - .address_space:  global
        .offset:         0
        .size:           8
        .value_kind:     global_buffer
      - .offset:         8
        .size:           8
        .value_kind:     by_value
      - .address_space:  global
        .offset:         16
        .size:           8
        .value_kind:     global_buffer
      - .offset:         24
        .size:           8
        .value_kind:     by_value
      - .offset:         32
        .size:           1
        .value_kind:     by_value
    .group_segment_fixed_size: 128
    .kernarg_segment_align: 8
    .kernarg_segment_size: 36
    .language:       OpenCL C
    .language_version:
      - 2
      - 0
    .max_flat_workgroup_size: 256
    .name:           _ZN7rocprim6detail19block_reduce_kernelILb1ELb0ELj8ENS0_21wrapped_reduce_configINS_14default_configEdEEdPdS5_dN6thrust4plusIdEEEEvT4_mT5_T6_T7_
    .private_segment_fixed_size: 0
    .sgpr_count:     18
    .sgpr_spill_count: 0
    .symbol:         _ZN7rocprim6detail19block_reduce_kernelILb1ELb0ELj8ENS0_21wrapped_reduce_configINS_14default_configEdEEdPdS5_dN6thrust4plusIdEEEEvT4_mT5_T6_T7_.kd
    .uniform_work_group_size: 1
    .uses_dynamic_stack: false
    .vgpr_count:     9
    .vgpr_spill_count: 0
    .wavefront_size: 32
    .workgroup_processor_mode: 1
  - .args:
      - .address_space:  global
        .offset:         0
        .size:           8
        .value_kind:     global_buffer
      - .offset:         8
        .size:           8
        .value_kind:     by_value
      - .address_space:  global
        .offset:         16
        .size:           8
        .value_kind:     global_buffer
      - .offset:         24
        .size:           8
        .value_kind:     by_value
      - .offset:         32
        .size:           1
        .value_kind:     by_value
    .group_segment_fixed_size: 128
    .kernarg_segment_align: 8
    .kernarg_segment_size: 36
    .language:       OpenCL C
    .language_version:
      - 2
      - 0
    .max_flat_workgroup_size: 256
    .name:           _ZN7rocprim6detail19block_reduce_kernelILb1ELb0ELj4ENS0_21wrapped_reduce_configINS_14default_configEdEEdPdS5_dN6thrust4plusIdEEEEvT4_mT5_T6_T7_
    .private_segment_fixed_size: 0
    .sgpr_count:     18
    .sgpr_spill_count: 0
    .symbol:         _ZN7rocprim6detail19block_reduce_kernelILb1ELb0ELj4ENS0_21wrapped_reduce_configINS_14default_configEdEEdPdS5_dN6thrust4plusIdEEEEvT4_mT5_T6_T7_.kd
    .uniform_work_group_size: 1
    .uses_dynamic_stack: false
    .vgpr_count:     13
    .vgpr_spill_count: 0
    .wavefront_size: 32
    .workgroup_processor_mode: 1
  - .args:
      - .address_space:  global
        .offset:         0
        .size:           8
        .value_kind:     global_buffer
      - .offset:         8
        .size:           8
        .value_kind:     by_value
      - .address_space:  global
        .offset:         16
        .size:           8
        .value_kind:     global_buffer
      - .offset:         24
        .size:           8
        .value_kind:     by_value
      - .offset:         32
        .size:           1
        .value_kind:     by_value
    .group_segment_fixed_size: 128
    .kernarg_segment_align: 8
    .kernarg_segment_size: 36
    .language:       OpenCL C
    .language_version:
      - 2
      - 0
    .max_flat_workgroup_size: 256
    .name:           _ZN7rocprim6detail19block_reduce_kernelILb1ELb0ELj2ENS0_21wrapped_reduce_configINS_14default_configEdEEdPdS5_dN6thrust4plusIdEEEEvT4_mT5_T6_T7_
    .private_segment_fixed_size: 0
    .sgpr_count:     18
    .sgpr_spill_count: 0
    .symbol:         _ZN7rocprim6detail19block_reduce_kernelILb1ELb0ELj2ENS0_21wrapped_reduce_configINS_14default_configEdEEdPdS5_dN6thrust4plusIdEEEEvT4_mT5_T6_T7_.kd
    .uniform_work_group_size: 1
    .uses_dynamic_stack: false
    .vgpr_count:     21
    .vgpr_spill_count: 0
    .wavefront_size: 32
    .workgroup_processor_mode: 1
  - .args:
      - .address_space:  global
        .offset:         0
        .size:           8
        .value_kind:     global_buffer
      - .offset:         8
        .size:           8
        .value_kind:     by_value
      - .address_space:  global
        .offset:         16
        .size:           8
        .value_kind:     global_buffer
      - .offset:         24
        .size:           8
        .value_kind:     by_value
      - .offset:         32
        .size:           1
        .value_kind:     by_value
    .group_segment_fixed_size: 128
    .kernarg_segment_align: 8
    .kernarg_segment_size: 36
    .language:       OpenCL C
    .language_version:
      - 2
      - 0
    .max_flat_workgroup_size: 256
    .name:           _ZN7rocprim6detail19block_reduce_kernelILb1ELb0ELj1ENS0_21wrapped_reduce_configINS_14default_configEdEEdPdS5_dN6thrust4plusIdEEEEvT4_mT5_T6_T7_
    .private_segment_fixed_size: 0
    .sgpr_count:     26
    .sgpr_spill_count: 0
    .symbol:         _ZN7rocprim6detail19block_reduce_kernelILb1ELb0ELj1ENS0_21wrapped_reduce_configINS_14default_configEdEEdPdS5_dN6thrust4plusIdEEEEvT4_mT5_T6_T7_.kd
    .uniform_work_group_size: 1
    .uses_dynamic_stack: false
    .vgpr_count:     37
    .vgpr_spill_count: 0
    .wavefront_size: 32
    .workgroup_processor_mode: 1
  - .args:
      - .offset:         0
        .size:           16
        .value_kind:     by_value
      - .offset:         16
        .size:           8
        .value_kind:     by_value
      - .address_space:  global
        .offset:         24
        .size:           8
        .value_kind:     global_buffer
      - .offset:         32
        .size:           8
        .value_kind:     by_value
      - .offset:         40
        .size:           1
        .value_kind:     by_value
    .group_segment_fixed_size: 128
    .kernarg_segment_align: 8
    .kernarg_segment_size: 44
    .language:       OpenCL C
    .language_version:
      - 2
      - 0
    .max_flat_workgroup_size: 256
    .name:           _ZN7rocprim6detail19block_reduce_kernelILb0ELb1ELj1ENS0_21wrapped_reduce_configINS_14default_configEdEEdN6thrust11hip_rocprim26transform_input_iterator_tIdNS5_6detail15normal_iteratorINS5_10device_ptrIdEEEEZ4mainEUldE_EEPddNS5_4plusIdEEEEvT4_mT5_T6_T7_
    .private_segment_fixed_size: 0
    .sgpr_count:     26
    .sgpr_spill_count: 0
    .symbol:         _ZN7rocprim6detail19block_reduce_kernelILb0ELb1ELj1ENS0_21wrapped_reduce_configINS_14default_configEdEEdN6thrust11hip_rocprim26transform_input_iterator_tIdNS5_6detail15normal_iteratorINS5_10device_ptrIdEEEEZ4mainEUldE_EEPddNS5_4plusIdEEEEvT4_mT5_T6_T7_.kd
    .uniform_work_group_size: 1
    .uses_dynamic_stack: false
    .vgpr_count:     37
    .vgpr_spill_count: 0
    .wavefront_size: 32
    .workgroup_processor_mode: 1
  - .args:
      - .offset:         0
        .size:           16
        .value_kind:     by_value
      - .offset:         16
        .size:           8
        .value_kind:     by_value
      - .address_space:  global
        .offset:         24
        .size:           8
        .value_kind:     global_buffer
      - .offset:         32
        .size:           8
        .value_kind:     by_value
      - .offset:         40
        .size:           1
        .value_kind:     by_value
    .group_segment_fixed_size: 128
    .kernarg_segment_align: 8
    .kernarg_segment_size: 44
    .language:       OpenCL C
    .language_version:
      - 2
      - 0
    .max_flat_workgroup_size: 256
    .name:           _ZN7rocprim6detail19block_reduce_kernelILb1ELb1ELj2ENS0_21wrapped_reduce_configINS_14default_configEdEEdN6thrust11hip_rocprim26transform_input_iterator_tIdNS5_6detail15normal_iteratorINS5_10device_ptrIdEEEEZ4mainEUldE_EEPddNS5_4plusIdEEEEvT4_mT5_T6_T7_
    .private_segment_fixed_size: 0
    .sgpr_count:     43
    .sgpr_spill_count: 0
    .symbol:         _ZN7rocprim6detail19block_reduce_kernelILb1ELb1ELj2ENS0_21wrapped_reduce_configINS_14default_configEdEEdN6thrust11hip_rocprim26transform_input_iterator_tIdNS5_6detail15normal_iteratorINS5_10device_ptrIdEEEEZ4mainEUldE_EEPddNS5_4plusIdEEEEvT4_mT5_T6_T7_.kd
    .uniform_work_group_size: 1
    .uses_dynamic_stack: false
    .vgpr_count:     68
    .vgpr_spill_count: 0
    .wavefront_size: 32
    .workgroup_processor_mode: 1
  - .args:
      - .offset:         0
        .size:           16
        .value_kind:     by_value
      - .offset:         16
        .size:           8
        .value_kind:     by_value
      - .address_space:  global
        .offset:         24
        .size:           8
        .value_kind:     global_buffer
      - .offset:         32
        .size:           8
        .value_kind:     by_value
      - .offset:         40
        .size:           1
        .value_kind:     by_value
    .group_segment_fixed_size: 128
    .kernarg_segment_align: 8
    .kernarg_segment_size: 44
    .language:       OpenCL C
    .language_version:
      - 2
      - 0
    .max_flat_workgroup_size: 256
    .name:           _ZN7rocprim6detail19block_reduce_kernelILb1ELb1ELj4ENS0_21wrapped_reduce_configINS_14default_configEdEEdN6thrust11hip_rocprim26transform_input_iterator_tIdNS5_6detail15normal_iteratorINS5_10device_ptrIdEEEEZ4mainEUldE_EEPddNS5_4plusIdEEEEvT4_mT5_T6_T7_
    .private_segment_fixed_size: 0
    .sgpr_count:     75
    .sgpr_spill_count: 0
    .symbol:         _ZN7rocprim6detail19block_reduce_kernelILb1ELb1ELj4ENS0_21wrapped_reduce_configINS_14default_configEdEEdN6thrust11hip_rocprim26transform_input_iterator_tIdNS5_6detail15normal_iteratorINS5_10device_ptrIdEEEEZ4mainEUldE_EEPddNS5_4plusIdEEEEvT4_mT5_T6_T7_.kd
    .uniform_work_group_size: 1
    .uses_dynamic_stack: false
    .vgpr_count:     132
    .vgpr_spill_count: 0
    .wavefront_size: 32
    .workgroup_processor_mode: 1
  - .args:
      - .offset:         0
        .size:           16
        .value_kind:     by_value
      - .offset:         16
        .size:           8
        .value_kind:     by_value
      - .address_space:  global
        .offset:         24
        .size:           8
        .value_kind:     global_buffer
      - .offset:         32
        .size:           8
        .value_kind:     by_value
      - .offset:         40
        .size:           1
        .value_kind:     by_value
    .group_segment_fixed_size: 128
    .kernarg_segment_align: 8
    .kernarg_segment_size: 44
    .language:       OpenCL C
    .language_version:
      - 2
      - 0
    .max_flat_workgroup_size: 256
    .name:           _ZN7rocprim6detail19block_reduce_kernelILb1ELb1ELj8ENS0_21wrapped_reduce_configINS_14default_configEdEEdN6thrust11hip_rocprim26transform_input_iterator_tIdNS5_6detail15normal_iteratorINS5_10device_ptrIdEEEEZ4mainEUldE_EEPddNS5_4plusIdEEEEvT4_mT5_T6_T7_
    .private_segment_fixed_size: 28
    .sgpr_count:     107
    .sgpr_spill_count: 32
    .symbol:         _ZN7rocprim6detail19block_reduce_kernelILb1ELb1ELj8ENS0_21wrapped_reduce_configINS_14default_configEdEEdN6thrust11hip_rocprim26transform_input_iterator_tIdNS5_6detail15normal_iteratorINS5_10device_ptrIdEEEEZ4mainEUldE_EEPddNS5_4plusIdEEEEvT4_mT5_T6_T7_.kd
    .uniform_work_group_size: 1
    .uses_dynamic_stack: false
    .vgpr_count:     256
    .vgpr_spill_count: 6
    .wavefront_size: 32
    .workgroup_processor_mode: 1
  - .args:
      - .offset:         0
        .size:           16
        .value_kind:     by_value
      - .offset:         16
        .size:           8
        .value_kind:     by_value
      - .address_space:  global
        .offset:         24
        .size:           8
        .value_kind:     global_buffer
      - .offset:         32
        .size:           8
        .value_kind:     by_value
      - .offset:         40
        .size:           1
        .value_kind:     by_value
    .group_segment_fixed_size: 128
    .kernarg_segment_align: 8
    .kernarg_segment_size: 44
    .language:       OpenCL C
    .language_version:
      - 2
      - 0
    .max_flat_workgroup_size: 256
    .name:           _ZN7rocprim6detail19block_reduce_kernelILb1ELb1ELj16ENS0_21wrapped_reduce_configINS_14default_configEdEEdN6thrust11hip_rocprim26transform_input_iterator_tIdNS5_6detail15normal_iteratorINS5_10device_ptrIdEEEEZ4mainEUldE_EEPddNS5_4plusIdEEEEvT4_mT5_T6_T7_
    .private_segment_fixed_size: 1060
    .sgpr_count:     107
    .sgpr_spill_count: 160
    .symbol:         _ZN7rocprim6detail19block_reduce_kernelILb1ELb1ELj16ENS0_21wrapped_reduce_configINS_14default_configEdEEdN6thrust11hip_rocprim26transform_input_iterator_tIdNS5_6detail15normal_iteratorINS5_10device_ptrIdEEEEZ4mainEUldE_EEPddNS5_4plusIdEEEEvT4_mT5_T6_T7_.kd
    .uniform_work_group_size: 1
    .uses_dynamic_stack: false
    .vgpr_count:     256
    .vgpr_spill_count: 264
    .wavefront_size: 32
    .workgroup_processor_mode: 1
  - .args:
      - .offset:         0
        .size:           16
        .value_kind:     by_value
      - .offset:         16
        .size:           8
        .value_kind:     by_value
      - .address_space:  global
        .offset:         24
        .size:           8
        .value_kind:     global_buffer
      - .offset:         32
        .size:           8
        .value_kind:     by_value
      - .offset:         40
        .size:           1
        .value_kind:     by_value
    .group_segment_fixed_size: 128
    .kernarg_segment_align: 8
    .kernarg_segment_size: 44
    .language:       OpenCL C
    .language_version:
      - 2
      - 0
    .max_flat_workgroup_size: 256
    .name:           _ZN7rocprim6detail19block_reduce_kernelILb1ELb0ELj16ENS0_21wrapped_reduce_configINS_14default_configEdEEdN6thrust11hip_rocprim26transform_input_iterator_tIdNS5_6detail15normal_iteratorINS5_10device_ptrIdEEEEZ4mainEUldE_EEPddNS5_4plusIdEEEEvT4_mT5_T6_T7_
    .private_segment_fixed_size: 0
    .sgpr_count:     16
    .sgpr_spill_count: 0
    .symbol:         _ZN7rocprim6detail19block_reduce_kernelILb1ELb0ELj16ENS0_21wrapped_reduce_configINS_14default_configEdEEdN6thrust11hip_rocprim26transform_input_iterator_tIdNS5_6detail15normal_iteratorINS5_10device_ptrIdEEEEZ4mainEUldE_EEPddNS5_4plusIdEEEEvT4_mT5_T6_T7_.kd
    .uniform_work_group_size: 1
    .uses_dynamic_stack: false
    .vgpr_count:     8
    .vgpr_spill_count: 0
    .wavefront_size: 32
    .workgroup_processor_mode: 1
  - .args:
      - .offset:         0
        .size:           16
        .value_kind:     by_value
      - .offset:         16
        .size:           8
        .value_kind:     by_value
      - .address_space:  global
        .offset:         24
        .size:           8
        .value_kind:     global_buffer
      - .offset:         32
        .size:           8
        .value_kind:     by_value
      - .offset:         40
        .size:           1
        .value_kind:     by_value
    .group_segment_fixed_size: 128
    .kernarg_segment_align: 8
    .kernarg_segment_size: 44
    .language:       OpenCL C
    .language_version:
      - 2
      - 0
    .max_flat_workgroup_size: 256
    .name:           _ZN7rocprim6detail19block_reduce_kernelILb1ELb0ELj8ENS0_21wrapped_reduce_configINS_14default_configEdEEdN6thrust11hip_rocprim26transform_input_iterator_tIdNS5_6detail15normal_iteratorINS5_10device_ptrIdEEEEZ4mainEUldE_EEPddNS5_4plusIdEEEEvT4_mT5_T6_T7_
    .private_segment_fixed_size: 0
    .sgpr_count:     18
    .sgpr_spill_count: 0
    .symbol:         _ZN7rocprim6detail19block_reduce_kernelILb1ELb0ELj8ENS0_21wrapped_reduce_configINS_14default_configEdEEdN6thrust11hip_rocprim26transform_input_iterator_tIdNS5_6detail15normal_iteratorINS5_10device_ptrIdEEEEZ4mainEUldE_EEPddNS5_4plusIdEEEEvT4_mT5_T6_T7_.kd
    .uniform_work_group_size: 1
    .uses_dynamic_stack: false
    .vgpr_count:     9
    .vgpr_spill_count: 0
    .wavefront_size: 32
    .workgroup_processor_mode: 1
  - .args:
      - .offset:         0
        .size:           16
        .value_kind:     by_value
      - .offset:         16
        .size:           8
        .value_kind:     by_value
      - .address_space:  global
        .offset:         24
        .size:           8
        .value_kind:     global_buffer
      - .offset:         32
        .size:           8
        .value_kind:     by_value
      - .offset:         40
        .size:           1
        .value_kind:     by_value
    .group_segment_fixed_size: 128
    .kernarg_segment_align: 8
    .kernarg_segment_size: 44
    .language:       OpenCL C
    .language_version:
      - 2
      - 0
    .max_flat_workgroup_size: 256
    .name:           _ZN7rocprim6detail19block_reduce_kernelILb1ELb0ELj4ENS0_21wrapped_reduce_configINS_14default_configEdEEdN6thrust11hip_rocprim26transform_input_iterator_tIdNS5_6detail15normal_iteratorINS5_10device_ptrIdEEEEZ4mainEUldE_EEPddNS5_4plusIdEEEEvT4_mT5_T6_T7_
    .private_segment_fixed_size: 0
    .sgpr_count:     18
    .sgpr_spill_count: 0
    .symbol:         _ZN7rocprim6detail19block_reduce_kernelILb1ELb0ELj4ENS0_21wrapped_reduce_configINS_14default_configEdEEdN6thrust11hip_rocprim26transform_input_iterator_tIdNS5_6detail15normal_iteratorINS5_10device_ptrIdEEEEZ4mainEUldE_EEPddNS5_4plusIdEEEEvT4_mT5_T6_T7_.kd
    .uniform_work_group_size: 1
    .uses_dynamic_stack: false
    .vgpr_count:     13
    .vgpr_spill_count: 0
    .wavefront_size: 32
    .workgroup_processor_mode: 1
  - .args:
      - .offset:         0
        .size:           16
        .value_kind:     by_value
      - .offset:         16
        .size:           8
        .value_kind:     by_value
      - .address_space:  global
        .offset:         24
        .size:           8
        .value_kind:     global_buffer
      - .offset:         32
        .size:           8
        .value_kind:     by_value
      - .offset:         40
        .size:           1
        .value_kind:     by_value
    .group_segment_fixed_size: 128
    .kernarg_segment_align: 8
    .kernarg_segment_size: 44
    .language:       OpenCL C
    .language_version:
      - 2
      - 0
    .max_flat_workgroup_size: 256
    .name:           _ZN7rocprim6detail19block_reduce_kernelILb1ELb0ELj2ENS0_21wrapped_reduce_configINS_14default_configEdEEdN6thrust11hip_rocprim26transform_input_iterator_tIdNS5_6detail15normal_iteratorINS5_10device_ptrIdEEEEZ4mainEUldE_EEPddNS5_4plusIdEEEEvT4_mT5_T6_T7_
    .private_segment_fixed_size: 0
    .sgpr_count:     18
    .sgpr_spill_count: 0
    .symbol:         _ZN7rocprim6detail19block_reduce_kernelILb1ELb0ELj2ENS0_21wrapped_reduce_configINS_14default_configEdEEdN6thrust11hip_rocprim26transform_input_iterator_tIdNS5_6detail15normal_iteratorINS5_10device_ptrIdEEEEZ4mainEUldE_EEPddNS5_4plusIdEEEEvT4_mT5_T6_T7_.kd
    .uniform_work_group_size: 1
    .uses_dynamic_stack: false
    .vgpr_count:     21
    .vgpr_spill_count: 0
    .wavefront_size: 32
    .workgroup_processor_mode: 1
  - .args:
      - .offset:         0
        .size:           16
        .value_kind:     by_value
      - .offset:         16
        .size:           8
        .value_kind:     by_value
      - .address_space:  global
        .offset:         24
        .size:           8
        .value_kind:     global_buffer
      - .offset:         32
        .size:           8
        .value_kind:     by_value
      - .offset:         40
        .size:           1
        .value_kind:     by_value
    .group_segment_fixed_size: 128
    .kernarg_segment_align: 8
    .kernarg_segment_size: 44
    .language:       OpenCL C
    .language_version:
      - 2
      - 0
    .max_flat_workgroup_size: 256
    .name:           _ZN7rocprim6detail19block_reduce_kernelILb1ELb0ELj1ENS0_21wrapped_reduce_configINS_14default_configEdEEdN6thrust11hip_rocprim26transform_input_iterator_tIdNS5_6detail15normal_iteratorINS5_10device_ptrIdEEEEZ4mainEUldE_EEPddNS5_4plusIdEEEEvT4_mT5_T6_T7_
    .private_segment_fixed_size: 0
    .sgpr_count:     26
    .sgpr_spill_count: 0
    .symbol:         _ZN7rocprim6detail19block_reduce_kernelILb1ELb0ELj1ENS0_21wrapped_reduce_configINS_14default_configEdEEdN6thrust11hip_rocprim26transform_input_iterator_tIdNS5_6detail15normal_iteratorINS5_10device_ptrIdEEEEZ4mainEUldE_EEPddNS5_4plusIdEEEEvT4_mT5_T6_T7_.kd
    .uniform_work_group_size: 1
    .uses_dynamic_stack: false
    .vgpr_count:     37
    .vgpr_spill_count: 0
    .wavefront_size: 32
    .workgroup_processor_mode: 1
amdhsa.target:   amdgcn-amd-amdhsa--gfx1201
amdhsa.version:
  - 1
  - 2
...

	.end_amdgpu_metadata
